;; amdgpu-corpus repo=ROCm/rocFFT kind=compiled arch=gfx906 opt=O3
	.text
	.amdgcn_target "amdgcn-amd-amdhsa--gfx906"
	.amdhsa_code_object_version 6
	.protected	bluestein_single_back_len1925_dim1_sp_op_CI_CI ; -- Begin function bluestein_single_back_len1925_dim1_sp_op_CI_CI
	.globl	bluestein_single_back_len1925_dim1_sp_op_CI_CI
	.p2align	8
	.type	bluestein_single_back_len1925_dim1_sp_op_CI_CI,@function
bluestein_single_back_len1925_dim1_sp_op_CI_CI: ; @bluestein_single_back_len1925_dim1_sp_op_CI_CI
; %bb.0:
	s_load_dwordx4 s[8:11], s[4:5], 0x28
	s_mov_b64 s[22:23], s[2:3]
	v_mul_u32_u24_e32 v1, 0x4a8, v0
	s_mov_b64 s[20:21], s[0:1]
	v_add_u32_sdwa v4, s6, v1 dst_sel:DWORD dst_unused:UNUSED_PAD src0_sel:DWORD src1_sel:WORD_1
	v_mov_b32_e32 v5, 0
	s_add_u32 s20, s20, s7
	s_waitcnt lgkmcnt(0)
	v_cmp_gt_u64_e32 vcc, s[8:9], v[4:5]
	s_addc_u32 s21, s21, 0
	s_and_saveexec_b64 s[0:1], vcc
	s_cbranch_execz .LBB0_10
; %bb.1:
	s_load_dwordx4 s[16:19], s[4:5], 0x18
	s_load_dwordx4 s[12:15], s[4:5], 0x0
	v_mov_b32_e32 v2, 55
	v_mul_lo_u16_sdwa v1, v1, v2 dst_sel:DWORD dst_unused:UNUSED_PAD src0_sel:WORD_1 src1_sel:DWORD
	v_sub_u16_e32 v189, v0, v1
	s_waitcnt lgkmcnt(0)
	s_load_dwordx4 s[0:3], s[16:17], 0x0
	v_mov_b32_e32 v5, v4
	buffer_store_dword v5, off, s[20:23], 0 offset:200 ; 4-byte Folded Spill
	s_nop 0
	buffer_store_dword v6, off, s[20:23], 0 offset:204 ; 4-byte Folded Spill
	v_lshlrev_b32_e32 v26, 3, v189
	global_load_dwordx2 v[27:28], v26, s[12:13]
	global_load_dwordx2 v[24:25], v26, s[12:13] offset:2200
	s_waitcnt lgkmcnt(0)
	v_mad_u64_u32 v[0:1], s[6:7], s2, v4, 0
	v_mad_u64_u32 v[2:3], s[6:7], s0, v189, 0
	s_mul_hi_u32 s6, s0, 0x898
	s_mul_i32 s7, s0, 0x898
	v_mad_u64_u32 v[4:5], s[2:3], s3, v4, v[1:2]
                                        ; implicit-def: $vgpr108
                                        ; implicit-def: $vgpr112
                                        ; implicit-def: $vgpr126
                                        ; implicit-def: $vgpr134
	v_mad_u64_u32 v[5:6], s[2:3], s1, v189, v[3:4]
	v_mov_b32_e32 v1, v4
	v_lshlrev_b64 v[0:1], 3, v[0:1]
	v_mov_b32_e32 v6, s11
	v_mov_b32_e32 v3, v5
	v_add_co_u32_e32 v4, vcc, s10, v0
	v_addc_co_u32_e32 v5, vcc, v6, v1, vcc
	v_lshlrev_b64 v[0:1], 3, v[2:3]
	v_mov_b32_e32 v2, s13
	v_add_co_u32_e32 v0, vcc, v4, v0
	v_addc_co_u32_e32 v1, vcc, v5, v1, vcc
	v_add_co_u32_e32 v6, vcc, s12, v26
	s_mul_i32 s2, s1, 0x898
	v_addc_co_u32_e32 v7, vcc, 0, v2, vcc
	s_add_i32 s6, s6, s2
	v_mov_b32_e32 v3, s6
	v_add_co_u32_e32 v2, vcc, s7, v0
	v_addc_co_u32_e32 v3, vcc, v1, v3, vcc
	v_mov_b32_e32 v5, s6
	v_add_co_u32_e32 v4, vcc, s7, v2
	v_addc_co_u32_e32 v5, vcc, v3, v5, vcc
	global_load_dwordx2 v[8:9], v[0:1], off
	global_load_dwordx2 v[10:11], v[2:3], off
	;; [unrolled: 1-line block ×3, first 2 shown]
	s_movk_i32 s2, 0x1000
	v_add_co_u32_e32 v0, vcc, s2, v6
	v_addc_co_u32_e32 v1, vcc, 0, v7, vcc
	v_mov_b32_e32 v3, s6
	v_add_co_u32_e32 v2, vcc, s7, v4
	v_addc_co_u32_e32 v3, vcc, v5, v3, vcc
	v_mov_b32_e32 v4, s6
	v_add_co_u32_e32 v16, vcc, s7, v2
	v_addc_co_u32_e32 v17, vcc, v3, v4, vcc
	s_movk_i32 s2, 0x2000
	global_load_dwordx2 v[22:23], v[0:1], off offset:304
	global_load_dwordx2 v[14:15], v[2:3], off
	global_load_dwordx2 v[20:21], v[0:1], off offset:2504
	v_add_co_u32_e32 v2, vcc, s2, v6
	v_addc_co_u32_e32 v3, vcc, 0, v7, vcc
	global_load_dwordx2 v[59:60], v[2:3], off offset:608
	global_load_dwordx2 v[4:5], v[16:17], off
	s_load_dwordx2 s[2:3], s[4:5], 0x38
	s_load_dwordx4 s[8:11], s[18:19], 0x0
	global_load_dwordx2 v[51:52], v26, s[12:13] offset:2640
	global_load_dwordx2 v[47:48], v26, s[12:13] offset:3080
	;; [unrolled: 1-line block ×6, first 2 shown]
	global_load_dwordx2 v[81:82], v[0:1], off offset:2944
	global_load_dwordx2 v[67:68], v[0:1], off offset:3384
	;; [unrolled: 1-line block ×6, first 2 shown]
	s_movk_i32 s4, 0x3000
	s_mulk_i32 s1, 0xce28
	s_mul_i32 s5, s0, 0xffffce28
	s_waitcnt vmcnt(19)
	v_mul_f32_e32 v18, v9, v28
	v_mul_f32_e32 v19, v8, v28
	v_fmac_f32_e32 v18, v8, v27
	buffer_store_dword v27, off, s[20:23], 0 offset:260 ; 4-byte Folded Spill
	s_nop 0
	buffer_store_dword v28, off, s[20:23], 0 offset:264 ; 4-byte Folded Spill
	s_waitcnt vmcnt(20)
	v_mul_f32_e32 v8, v11, v25
	v_fmac_f32_e32 v8, v10, v24
	v_fma_f32 v19, v9, v27, -v19
	v_mul_f32_e32 v9, v10, v25
	buffer_store_dword v24, off, s[20:23], 0 offset:228 ; 4-byte Folded Spill
	s_nop 0
	buffer_store_dword v25, off, s[20:23], 0 offset:232 ; 4-byte Folded Spill
	s_waitcnt vmcnt(20)
	v_mul_f32_e32 v10, v13, v23
	v_fmac_f32_e32 v10, v12, v22
	v_fma_f32 v9, v11, v24, -v9
	v_mul_f32_e32 v11, v12, v23
	ds_write_b64 v26, v[8:9] offset:2200
	buffer_store_dword v22, off, s[20:23], 0 offset:212 ; 4-byte Folded Spill
	s_nop 0
	buffer_store_dword v23, off, s[20:23], 0 offset:216 ; 4-byte Folded Spill
	s_waitcnt vmcnt(20)
	v_mul_f32_e32 v8, v15, v21
	v_mul_f32_e32 v9, v14, v21
	v_fmac_f32_e32 v8, v14, v20
	v_fma_f32 v11, v13, v22, -v11
	ds_write_b64 v26, v[10:11] offset:4400
	buffer_store_dword v20, off, s[20:23], 0 offset:192 ; 4-byte Folded Spill
	s_nop 0
	buffer_store_dword v21, off, s[20:23], 0 offset:196 ; 4-byte Folded Spill
	v_mov_b32_e32 v10, s6
	v_mov_b32_e32 v13, s6
	v_fma_f32 v9, v15, v20, -v9
	ds_write_b64 v26, v[8:9] offset:6600
	v_add_co_u32_e32 v9, vcc, s7, v16
	v_addc_co_u32_e32 v10, vcc, v17, v10, vcc
	global_load_dwordx2 v[85:86], v[2:3], off offset:1048
	global_load_dwordx2 v[75:76], v[2:3], off offset:1488
	;; [unrolled: 1-line block ×3, first 2 shown]
	global_load_dwordx2 v[11:12], v[9:10], off
	global_load_dwordx2 v[69:70], v[2:3], off offset:2808
	v_add_co_u32_e32 v9, vcc, s7, v9
	v_addc_co_u32_e32 v10, vcc, v10, v13, vcc
	v_add_co_u32_e32 v6, vcc, s4, v6
	s_mul_hi_u32 s4, s0, 0xffffce28
	s_sub_i32 s4, s4, s0
	v_addc_co_u32_e32 v7, vcc, 0, v7, vcc
	s_add_i32 s4, s4, s1
	global_load_dwordx2 v[13:14], v[9:10], off
	v_mov_b32_e32 v15, s4
	v_add_co_u32_e32 v9, vcc, s5, v9
	v_addc_co_u32_e32 v10, vcc, v10, v15, vcc
	global_load_dwordx2 v[15:16], v[9:10], off
	v_mov_b32_e32 v17, s6
	v_add_co_u32_e32 v9, vcc, s7, v9
	v_addc_co_u32_e32 v10, vcc, v10, v17, vcc
	global_load_dwordx2 v[20:21], v[9:10], off
	v_add_co_u32_e32 v9, vcc, s7, v9
	v_addc_co_u32_e32 v10, vcc, v10, v17, vcc
	global_load_dwordx2 v[22:23], v[9:10], off
	;; [unrolled: 3-line block ×4, first 2 shown]
	v_add_co_u32_e32 v9, vcc, s7, v9
	v_addc_co_u32_e32 v10, vcc, v10, v17, vcc
	global_load_dwordx2 v[91:92], v[6:7], off offset:912
	global_load_dwordx2 v[29:30], v[9:10], off
	global_load_dwordx2 v[89:90], v[2:3], off offset:3248
	v_add_co_u32_e32 v9, vcc, s7, v9
	v_addc_co_u32_e32 v10, vcc, v10, v17, vcc
	global_load_dwordx2 v[31:32], v[9:10], off
	global_load_dwordx2 v[87:88], v[6:7], off offset:1352
	v_mov_b32_e32 v17, s4
	v_add_co_u32_e32 v9, vcc, s5, v9
	v_addc_co_u32_e32 v10, vcc, v10, v17, vcc
	global_load_dwordx2 v[33:34], v[9:10], off
	v_mov_b32_e32 v17, s6
	v_add_co_u32_e32 v9, vcc, s7, v9
	v_addc_co_u32_e32 v10, vcc, v10, v17, vcc
	global_load_dwordx2 v[35:36], v[9:10], off
	v_add_co_u32_e32 v9, vcc, s7, v9
	v_addc_co_u32_e32 v10, vcc, v10, v17, vcc
	global_load_dwordx2 v[37:38], v[9:10], off
	;; [unrolled: 3-line block ×3, first 2 shown]
	v_add_co_u32_e32 v9, vcc, s7, v9
	v_addc_co_u32_e32 v10, vcc, v10, v17, vcc
	v_add_co_u32_e32 v43, vcc, s7, v9
	s_waitcnt vmcnt(40)
	v_mul_f32_e32 v8, v5, v60
	v_addc_co_u32_e32 v44, vcc, v10, v17, vcc
	v_fmac_f32_e32 v8, v4, v59
	global_load_dwordx2 v[41:42], v[9:10], off
	global_load_dwordx2 v[45:46], v[43:44], off
	global_load_dwordx2 v[79:80], v[2:3], off offset:3688
	v_mul_f32_e32 v4, v4, v60
	buffer_store_dword v59, off, s[20:23], 0 offset:176 ; 4-byte Folded Spill
	s_nop 0
	buffer_store_dword v60, off, s[20:23], 0 offset:180 ; 4-byte Folded Spill
	v_add_u32_e32 v10, 0x1800, v26
	s_movk_i32 s0, 0x6e
	v_add_co_u32_e64 v180, s[0:1], s0, v189
	v_add_co_u32_e32 v181, vcc, 55, v189
	v_fma_f32 v9, v5, v59, -v4
	ds_write_b64 v26, v[8:9] offset:8800
	global_load_dwordx2 v[71:72], v[2:3], off offset:1928
	global_load_dwordx2 v[61:62], v[2:3], off offset:2368
	s_waitcnt vmcnt(22)
	v_mul_f32_e32 v2, v12, v70
	v_fmac_f32_e32 v2, v11, v69
	v_mul_f32_e32 v3, v11, v70
	buffer_store_dword v69, off, s[20:23], 0 offset:356 ; 4-byte Folded Spill
	s_nop 0
	buffer_store_dword v70, off, s[20:23], 0 offset:360 ; 4-byte Folded Spill
	s_waitcnt vmcnt(20)
	v_mul_f32_e32 v8, v23, v84
	v_fmac_f32_e32 v8, v22, v83
	s_waitcnt vmcnt(19)
	v_mul_f32_e32 v11, v25, v82
	v_fmac_f32_e32 v11, v24, v81
	v_mov_b32_e32 v5, s6
	v_fma_f32 v3, v12, v69, -v3
	ds_write_b64 v26, v[2:3] offset:11000
	s_waitcnt vmcnt(17)
	v_mul_f32_e32 v2, v14, v92
	global_load_dwordx2 v[69:70], v[6:7], off offset:32
	global_load_dwordx2 v[59:60], v[6:7], off offset:472
	v_fmac_f32_e32 v2, v13, v91
	v_mul_f32_e32 v3, v13, v92
	buffer_store_dword v91, off, s[20:23], 0 offset:348 ; 4-byte Folded Spill
	s_nop 0
	buffer_store_dword v92, off, s[20:23], 0 offset:352 ; 4-byte Folded Spill
	v_add_u32_e32 v13, 0x1000, v26
	v_fma_f32 v3, v14, v91, -v3
	ds_write_b64 v26, v[2:3] offset:13200
	v_mul_f32_e32 v2, v16, v78
	v_fmac_f32_e32 v2, v15, v77
	v_mul_f32_e32 v3, v15, v78
	buffer_store_dword v77, off, s[20:23], 0 offset:268 ; 4-byte Folded Spill
	s_nop 0
	buffer_store_dword v78, off, s[20:23], 0 offset:272 ; 4-byte Folded Spill
	v_mul_f32_e32 v14, v28, v86
	v_fmac_f32_e32 v14, v27, v85
	v_fma_f32 v3, v16, v77, -v3
	ds_write2_b64 v26, v[18:19], v[2:3] offset1:55
	v_mul_f32_e32 v3, v21, v52
	v_fmac_f32_e32 v3, v20, v51
	v_mul_f32_e32 v2, v20, v52
	buffer_store_dword v51, off, s[20:23], 0 offset:168 ; 4-byte Folded Spill
	s_nop 0
	buffer_store_dword v52, off, s[20:23], 0 offset:172 ; 4-byte Folded Spill
	s_waitcnt vmcnt(23)
	v_mul_f32_e32 v16, v30, v90
	v_fmac_f32_e32 v16, v29, v89
	s_waitcnt vmcnt(21)
	v_mul_f32_e32 v19, v32, v88
	v_fmac_f32_e32 v19, v31, v87
	v_add_u32_e32 v18, 0x3000, v26
	v_fma_f32 v4, v21, v51, -v2
	v_mul_f32_e32 v2, v22, v84
	buffer_store_dword v83, off, s[20:23], 0 offset:316 ; 4-byte Folded Spill
	s_nop 0
	buffer_store_dword v84, off, s[20:23], 0 offset:320 ; 4-byte Folded Spill
	s_waitcnt vmcnt(22)
	v_mul_f32_e32 v21, v34, v50
	v_fmac_f32_e32 v21, v33, v49
	v_fma_f32 v9, v23, v83, -v2
	v_mul_f32_e32 v2, v24, v82
	buffer_store_dword v81, off, s[20:23], 0 offset:308 ; 4-byte Folded Spill
	s_nop 0
	buffer_store_dword v82, off, s[20:23], 0 offset:312 ; 4-byte Folded Spill
	s_waitcnt vmcnt(23)
	v_mul_f32_e32 v23, v36, v48
	v_fmac_f32_e32 v23, v35, v47
	v_fma_f32 v12, v25, v81, -v2
	v_mul_f32_e32 v2, v27, v86
	buffer_store_dword v85, off, s[20:23], 0 offset:324 ; 4-byte Folded Spill
	s_nop 0
	buffer_store_dword v86, off, s[20:23], 0 offset:328 ; 4-byte Folded Spill
	v_fma_f32 v15, v28, v85, -v2
	v_mul_f32_e32 v2, v29, v90
	buffer_store_dword v89, off, s[20:23], 0 offset:340 ; 4-byte Folded Spill
	s_nop 0
	buffer_store_dword v90, off, s[20:23], 0 offset:344 ; 4-byte Folded Spill
	v_fma_f32 v17, v30, v89, -v2
	v_mul_f32_e32 v2, v31, v88
	buffer_store_dword v87, off, s[20:23], 0 offset:332 ; 4-byte Folded Spill
	s_nop 0
	buffer_store_dword v88, off, s[20:23], 0 offset:336 ; 4-byte Folded Spill
	v_fma_f32 v20, v32, v87, -v2
	v_mul_f32_e32 v2, v33, v50
	buffer_store_dword v49, off, s[20:23], 0 offset:136 ; 4-byte Folded Spill
	s_nop 0
	buffer_store_dword v50, off, s[20:23], 0 offset:140 ; 4-byte Folded Spill
	v_fma_f32 v22, v34, v49, -v2
	v_mul_f32_e32 v2, v35, v48
	buffer_store_dword v47, off, s[20:23], 0 offset:128 ; 4-byte Folded Spill
	s_nop 0
	buffer_store_dword v48, off, s[20:23], 0 offset:132 ; 4-byte Folded Spill
	v_fma_f32 v24, v36, v47, -v2
	v_add_u32_e32 v2, 0x800, v26
	ds_write2_b64 v2, v[3:4], v[23:24] offset0:74 offset1:129
	s_waitcnt vmcnt(32)
	v_mul_f32_e32 v3, v38, v74
	v_fmac_f32_e32 v3, v37, v73
	v_mul_f32_e32 v4, v37, v74
	buffer_store_dword v73, off, s[20:23], 0 offset:244 ; 4-byte Folded Spill
	s_nop 0
	buffer_store_dword v74, off, s[20:23], 0 offset:248 ; 4-byte Folded Spill
	v_fma_f32 v4, v38, v73, -v4
	ds_write2_b64 v13, v[8:9], v[3:4] offset0:93 offset1:148
	s_waitcnt vmcnt(33)
	v_mul_f32_e32 v3, v40, v68
	v_fmac_f32_e32 v3, v39, v67
	v_mul_f32_e32 v4, v39, v68
	buffer_store_dword v67, off, s[20:23], 0 offset:220 ; 4-byte Folded Spill
	s_nop 0
	buffer_store_dword v68, off, s[20:23], 0 offset:224 ; 4-byte Folded Spill
	v_fma_f32 v4, v40, v67, -v4
	ds_write2_b64 v10, v[11:12], v[3:4] offset0:112 offset1:167
	s_waitcnt vmcnt(34)
	v_mul_f32_e32 v3, v42, v76
	v_fmac_f32_e32 v3, v41, v75
	v_mul_f32_e32 v4, v41, v76
	buffer_store_dword v75, off, s[20:23], 0 offset:252 ; 4-byte Folded Spill
	s_nop 0
	buffer_store_dword v76, off, s[20:23], 0 offset:256 ; 4-byte Folded Spill
	v_add_u32_e32 v11, 0x2000, v26
	v_mov_b32_e32 v12, s4
	v_fma_f32 v4, v42, v75, -v4
	ds_write2_b64 v11, v[14:15], v[3:4] offset0:131 offset1:186
	v_add_co_u32_e64 v4, s[0:1], s7, v43
	v_addc_co_u32_e64 v5, s[0:1], v44, v5, s[0:1]
	global_load_dwordx2 v[8:9], v[4:5], off
	global_load_dwordx2 v[83:84], v[6:7], off offset:1792
	v_add_co_u32_e64 v4, s[0:1], s5, v4
	v_addc_co_u32_e64 v5, s[0:1], v5, v12, s[0:1]
	global_load_dwordx2 v[14:15], v[4:5], off
	v_mov_b32_e32 v12, s6
	v_add_co_u32_e64 v4, s[0:1], s7, v4
	v_addc_co_u32_e64 v5, s[0:1], v5, v12, s[0:1]
	global_load_dwordx2 v[23:24], v[4:5], off
	global_load_dwordx2 v[81:82], v26, s[12:13] offset:3520
	v_add_co_u32_e64 v4, s[0:1], s7, v4
	v_addc_co_u32_e64 v5, s[0:1], v5, v12, s[0:1]
	global_load_dwordx2 v[27:28], v[4:5], off
	v_add_co_u32_e64 v4, s[0:1], s7, v4
	v_addc_co_u32_e64 v5, s[0:1], v5, v12, s[0:1]
	global_load_dwordx2 v[29:30], v[4:5], off
	global_load_dwordx2 v[77:78], v[0:1], off offset:3824
	v_mov_b32_e32 v1, s6
	v_add_co_u32_e64 v0, s[0:1], s7, v4
	v_addc_co_u32_e64 v1, s[0:1], v5, v1, s[0:1]
	global_load_dwordx2 v[31:32], v[0:1], off
	v_mov_b32_e32 v4, s6
	v_add_co_u32_e64 v0, s[0:1], s7, v0
	v_addc_co_u32_e64 v1, s[0:1], v1, v4, s[0:1]
	global_load_dwordx2 v[33:34], v[0:1], off
	v_add_co_u32_e64 v0, s[0:1], s7, v0
	v_addc_co_u32_e64 v1, s[0:1], v1, v4, s[0:1]
	global_load_dwordx2 v[35:36], v[0:1], off
	global_load_dwordx2 v[75:76], v[6:7], off offset:2232
	v_mov_b32_e32 v4, s4
	v_add_co_u32_e64 v0, s[0:1], s5, v0
	v_addc_co_u32_e64 v1, s[0:1], v1, v4, s[0:1]
	global_load_dwordx2 v[37:38], v[0:1], off
	v_mov_b32_e32 v4, s6
	v_add_co_u32_e64 v0, s[0:1], s7, v0
	v_addc_co_u32_e64 v1, s[0:1], v1, v4, s[0:1]
	global_load_dwordx2 v[39:40], v[0:1], off
	global_load_dwordx2 v[73:74], v26, s[12:13] offset:3960
	v_add_co_u32_e64 v0, s[0:1], s7, v0
	v_addc_co_u32_e64 v1, s[0:1], v1, v4, s[0:1]
	global_load_dwordx2 v[41:42], v[0:1], off
	v_add_co_u32_e64 v0, s[0:1], s7, v0
	v_addc_co_u32_e64 v1, s[0:1], v1, v4, s[0:1]
	global_load_dwordx2 v[43:44], v[0:1], off
	;; [unrolled: 3-line block ×4, first 2 shown]
	v_add_co_u32_e64 v0, s[0:1], s7, v0
	s_waitcnt vmcnt(53)
	v_mul_f32_e32 v3, v46, v80
	v_addc_co_u32_e64 v1, s[0:1], v1, v4, s[0:1]
	global_load_dwordx2 v[51:52], v[0:1], off
	global_load_dwordx2 v[67:68], v[6:7], off offset:2672
	v_fmac_f32_e32 v3, v45, v79
	v_mul_f32_e32 v0, v45, v80
	buffer_store_dword v79, off, s[20:23], 0 offset:284 ; 4-byte Folded Spill
	s_nop 0
	buffer_store_dword v80, off, s[20:23], 0 offset:288 ; 4-byte Folded Spill
	v_add_u32_e32 v12, 0x2800, v26
	s_waitcnt vmcnt(21)
	v_mul_f32_e32 v1, v8, v84
	s_movk_i32 s0, 0xa5
	v_add_co_u32_e64 v182, s[0:1], s0, v189
	s_movk_i32 s0, 0xdc
	v_add_co_u32_e64 v184, s[0:1], s0, v189
	s_mov_b32 s0, 0x3f5ff5aa
	s_mov_b32 s4, 0x3f3bfb3b
	;; [unrolled: 1-line block ×4, first 2 shown]
	s_waitcnt vmcnt(15)
	v_mul_f32_e32 v5, v30, v78
	v_fmac_f32_e32 v5, v29, v77
	v_mul_f32_e32 v6, v29, v78
	s_waitcnt vmcnt(14)
	v_mul_f32_e32 v7, v32, v72
	v_fmac_f32_e32 v7, v31, v71
	v_fma_f32 v4, v46, v79, -v0
	v_mul_f32_e32 v0, v9, v84
	ds_write2_b64 v12, v[16:17], v[3:4] offset0:150 offset1:205
	v_fmac_f32_e32 v0, v8, v83
	buffer_store_dword v83, off, s[20:23], 0 offset:300 ; 4-byte Folded Spill
	s_nop 0
	buffer_store_dword v84, off, s[20:23], 0 offset:304 ; 4-byte Folded Spill
	v_mul_f32_e32 v3, v28, v66
	v_fmac_f32_e32 v3, v27, v65
	v_mul_f32_e32 v4, v27, v66
	v_mul_f32_e32 v8, v31, v72
	s_waitcnt vmcnt(13)
	v_mul_f32_e32 v16, v36, v76
	v_fmac_f32_e32 v16, v35, v75
	v_fma_f32 v1, v9, v83, -v1
	ds_write2_b64 v18, v[19:20], v[0:1] offset0:169 offset1:224
	v_mul_f32_e32 v0, v15, v64
	v_fmac_f32_e32 v0, v14, v63
	v_mul_f32_e32 v1, v14, v64
	buffer_store_dword v63, off, s[20:23], 0 offset:112 ; 4-byte Folded Spill
	s_nop 0
	buffer_store_dword v64, off, s[20:23], 0 offset:116 ; 4-byte Folded Spill
	v_mul_f32_e32 v14, v34, v70
	v_fmac_f32_e32 v14, v33, v69
	v_mul_f32_e32 v9, v33, v70
	s_waitcnt vmcnt(14)
	v_mul_f32_e32 v19, v38, v58
	v_fmac_f32_e32 v19, v37, v57
	v_fma_f32 v1, v15, v63, -v1
	ds_write2_b64 v26, v[21:22], v[0:1] offset0:110 offset1:165
	v_mul_f32_e32 v0, v24, v82
	v_fmac_f32_e32 v0, v23, v81
	v_mul_f32_e32 v1, v23, v82
	buffer_store_dword v81, off, s[20:23], 0 offset:292 ; 4-byte Folded Spill
	s_nop 0
	buffer_store_dword v82, off, s[20:23], 0 offset:296 ; 4-byte Folded Spill
	buffer_store_dword v65, off, s[20:23], 0 offset:120 ; 4-byte Folded Spill
	s_nop 0
	buffer_store_dword v66, off, s[20:23], 0 offset:124 ; 4-byte Folded Spill
	;; [unrolled: 3-line block ×5, first 2 shown]
	v_add_u32_e32 v21, 0x3400, v26
	v_fma_f32 v1, v24, v81, -v1
	v_fma_f32 v4, v28, v65, -v4
	;; [unrolled: 1-line block ×5, first 2 shown]
	v_mul_f32_e32 v9, v35, v76
	buffer_store_dword v75, off, s[20:23], 0 offset:236 ; 4-byte Folded Spill
	s_nop 0
	buffer_store_dword v76, off, s[20:23], 0 offset:240 ; 4-byte Folded Spill
	v_fma_f32 v17, v36, v75, -v9
	v_mul_f32_e32 v9, v37, v58
	buffer_store_dword v57, off, s[20:23], 0 offset:88 ; 4-byte Folded Spill
	s_nop 0
	buffer_store_dword v58, off, s[20:23], 0 offset:92 ; 4-byte Folded Spill
	v_fma_f32 v20, v38, v57, -v9
	ds_write_b64 v26, v[19:20] offset:1760
	s_waitcnt vmcnt(26)
	v_mul_f32_e32 v19, v40, v74
	v_fmac_f32_e32 v19, v39, v73
	v_mul_f32_e32 v9, v39, v74
	buffer_store_dword v73, off, s[20:23], 0 offset:184 ; 4-byte Folded Spill
	s_nop 0
	buffer_store_dword v74, off, s[20:23], 0 offset:188 ; 4-byte Folded Spill
	v_fma_f32 v20, v40, v73, -v9
	ds_write2_b64 v2, v[0:1], v[19:20] offset0:184 offset1:239
	s_waitcnt vmcnt(27)
	v_mul_f32_e32 v0, v42, v54
	v_fmac_f32_e32 v0, v41, v53
	v_mul_f32_e32 v1, v41, v54
	buffer_store_dword v53, off, s[20:23], 0 offset:72 ; 4-byte Folded Spill
	s_nop 0
	buffer_store_dword v54, off, s[20:23], 0 offset:76 ; 4-byte Folded Spill
	v_add_u32_e32 v9, 0x1400, v26
	v_add_u32_e32 v19, 0x2400, v26
	;; [unrolled: 1-line block ×3, first 2 shown]
	v_fma_f32 v1, v42, v53, -v1
	ds_write2_b64 v9, v[3:4], v[0:1] offset0:75 offset1:130
	s_waitcnt vmcnt(28)
	v_mul_f32_e32 v0, v44, v56
	v_fmac_f32_e32 v0, v43, v55
	v_mul_f32_e32 v1, v43, v56
	buffer_store_dword v55, off, s[20:23], 0 offset:80 ; 4-byte Folded Spill
	s_nop 0
	buffer_store_dword v56, off, s[20:23], 0 offset:84 ; 4-byte Folded Spill
	v_add_u32_e32 v9, 0x1c00, v26
	v_add_u32_e32 v3, 0x3800, v26
	v_fma_f32 v1, v44, v55, -v1
	ds_write2_b64 v9, v[5:6], v[0:1] offset0:94 offset1:149
	s_waitcnt vmcnt(29)
	v_mul_f32_e32 v0, v48, v62
	v_fmac_f32_e32 v0, v47, v61
	v_mul_f32_e32 v1, v47, v62
	buffer_store_dword v61, off, s[20:23], 0 offset:104 ; 4-byte Folded Spill
	s_nop 0
	buffer_store_dword v62, off, s[20:23], 0 offset:108 ; 4-byte Folded Spill
	v_fma_f32 v1, v48, v61, -v1
	ds_write2_b64 v19, v[7:8], v[0:1] offset0:113 offset1:168
	s_waitcnt vmcnt(30)
	v_mul_f32_e32 v0, v50, v60
	v_fmac_f32_e32 v0, v49, v59
	v_mul_f32_e32 v1, v49, v60
	buffer_store_dword v59, off, s[20:23], 0 offset:96 ; 4-byte Folded Spill
	s_nop 0
	buffer_store_dword v60, off, s[20:23], 0 offset:100 ; 4-byte Folded Spill
	;; [unrolled: 9-line block ×3, first 2 shown]
	v_fma_f32 v1, v52, v67, -v1
	ds_write2_b64 v3, v[16:17], v[0:1] offset0:23 offset1:78
	s_waitcnt lgkmcnt(0)
	; wave barrier
	s_waitcnt lgkmcnt(0)
	ds_read2_b64 v[3:6], v26 offset1:55
	ds_read2_b64 v[14:17], v20 offset0:92 offset1:147
	ds_read2_b64 v[22:25], v13 offset0:38 offset1:93
	;; [unrolled: 1-line block ×16, first 2 shown]
	ds_read_b64 v[0:1], v26 offset:14960
	s_waitcnt lgkmcnt(11)
	v_add_f32_e32 v7, v16, v39
	v_add_f32_e32 v8, v17, v40
	v_sub_f32_e32 v9, v16, v39
	v_sub_f32_e32 v16, v17, v40
	v_add_f32_e32 v17, v22, v37
	v_add_f32_e32 v39, v23, v38
	v_sub_f32_e32 v22, v22, v37
	v_add_f32_e32 v37, v29, v31
	v_sub_f32_e32 v29, v31, v29
	;; [unrolled: 2-line block ×5, first 2 shown]
	v_sub_f32_e32 v84, v7, v37
	v_add_f32_e32 v7, v29, v22
	v_add_f32_e32 v31, v37, v31
	v_sub_f32_e32 v83, v39, v8
	v_sub_f32_e32 v85, v8, v38
	v_add_f32_e32 v8, v30, v23
	v_sub_f32_e32 v86, v29, v22
	v_sub_f32_e32 v29, v9, v29
	;; [unrolled: 1-line block ×3, first 2 shown]
	v_add_f32_e32 v32, v38, v32
	v_add_f32_e32 v9, v7, v9
	;; [unrolled: 1-line block ×3, first 2 shown]
	v_sub_f32_e32 v17, v37, v17
	v_sub_f32_e32 v39, v38, v39
	;; [unrolled: 1-line block ×5, first 2 shown]
	v_add_f32_e32 v16, v8, v16
	v_add_f32_e32 v8, v4, v32
	v_mov_b32_e32 v88, v7
	v_mul_f32_e32 v3, 0x3f4a47b2, v84
	v_mul_f32_e32 v4, 0x3f4a47b2, v85
	;; [unrolled: 1-line block ×6, first 2 shown]
	v_fmac_f32_e32 v88, 0xbf955555, v31
	v_mov_b32_e32 v31, v8
	v_mul_f32_e32 v86, 0x3f5ff5aa, v22
	v_mul_f32_e32 v87, 0x3f5ff5aa, v23
	v_fmac_f32_e32 v31, 0xbf955555, v32
	v_fma_f32 v32, v40, s4, -v37
	v_fma_f32 v37, v83, s4, -v38
	;; [unrolled: 1-line block ×3, first 2 shown]
	v_fmac_f32_e32 v3, 0x3d64c772, v17
	v_fma_f32 v17, v83, s1, -v4
	v_fmac_f32_e32 v4, 0x3d64c772, v39
	v_fma_f32 v39, v22, s0, -v84
	;; [unrolled: 2-line block ×4, first 2 shown]
	v_fma_f32 v86, v30, s5, -v87
	v_add_f32_e32 v3, v3, v88
	v_add_f32_e32 v4, v4, v31
	;; [unrolled: 1-line block ×4, first 2 shown]
	v_fmac_f32_e32 v84, 0x3ee1c552, v9
	v_fmac_f32_e32 v85, 0x3ee1c552, v16
	;; [unrolled: 1-line block ×4, first 2 shown]
	v_add_f32_e32 v87, v17, v31
	v_fmac_f32_e32 v83, 0x3ee1c552, v9
	v_fmac_f32_e32 v86, 0x3ee1c552, v16
	v_add_f32_e32 v16, v3, v85
	v_sub_f32_e32 v17, v4, v84
	v_sub_f32_e32 v29, v32, v40
	v_add_f32_e32 v30, v39, v37
	v_add_f32_e32 v31, v40, v32
	v_sub_f32_e32 v32, v37, v39
	v_sub_f32_e32 v39, v3, v85
	v_add_f32_e32 v40, v84, v4
	s_waitcnt lgkmcnt(10)
	v_add_f32_e32 v3, v43, v41
	v_add_f32_e32 v4, v44, v42
	v_sub_f32_e32 v9, v43, v41
	v_sub_f32_e32 v41, v44, v42
	s_waitcnt lgkmcnt(8)
	v_add_f32_e32 v42, v24, v51
	v_add_f32_e32 v43, v25, v52
	;; [unrolled: 1-line block ×3, first 2 shown]
	v_sub_f32_e32 v33, v33, v47
	v_add_f32_e32 v47, v42, v3
	v_add_f32_e32 v38, v38, v88
	v_sub_f32_e32 v24, v24, v51
	v_sub_f32_e32 v25, v25, v52
	v_add_f32_e32 v51, v48, v34
	v_sub_f32_e32 v34, v34, v48
	v_add_f32_e32 v48, v43, v4
	v_sub_f32_e32 v52, v42, v3
	v_sub_f32_e32 v3, v3, v44
	v_sub_f32_e32 v42, v44, v42
	v_add_f32_e32 v44, v44, v47
	v_add_f32_e32 v22, v86, v38
	v_sub_f32_e32 v37, v38, v86
	v_add_f32_e32 v84, v33, v24
	v_sub_f32_e32 v86, v33, v24
	v_sub_f32_e32 v88, v24, v9
	v_add_f32_e32 v47, v51, v48
	v_add_f32_e32 v24, v5, v44
	v_sub_f32_e32 v23, v87, v83
	v_add_f32_e32 v38, v83, v87
	v_sub_f32_e32 v83, v43, v4
	v_sub_f32_e32 v4, v4, v51
	;; [unrolled: 1-line block ×3, first 2 shown]
	v_add_f32_e32 v85, v34, v25
	v_sub_f32_e32 v87, v34, v25
	v_sub_f32_e32 v33, v9, v33
	;; [unrolled: 1-line block ×3, first 2 shown]
	v_add_f32_e32 v9, v84, v9
	v_add_f32_e32 v25, v6, v47
	v_mul_f32_e32 v84, 0xbf08b237, v86
	v_mov_b32_e32 v86, v24
	v_sub_f32_e32 v34, v41, v34
	v_add_f32_e32 v41, v85, v41
	v_mul_f32_e32 v3, 0x3f4a47b2, v3
	v_mul_f32_e32 v4, 0x3f4a47b2, v4
	;; [unrolled: 1-line block ×5, first 2 shown]
	v_fmac_f32_e32 v86, 0xbf955555, v44
	v_mov_b32_e32 v44, v25
	v_mul_f32_e32 v48, 0x3f5ff5aa, v88
	v_fmac_f32_e32 v44, 0xbf955555, v47
	v_fma_f32 v5, v52, s4, -v5
	v_fma_f32 v6, v83, s4, -v6
	v_fma_f32 v47, v52, s1, -v3
	v_fmac_f32_e32 v3, 0x3d64c772, v42
	v_fma_f32 v42, v83, s1, -v4
	v_fma_f32 v83, v89, s0, -v85
	v_fmac_f32_e32 v85, 0x3eae86e6, v34
	v_fmac_f32_e32 v4, 0x3d64c772, v43
	v_fma_f32 v52, v88, s0, -v84
	v_fmac_f32_e32 v84, 0x3eae86e6, v33
	v_fma_f32 v87, v33, s5, -v48
	v_add_f32_e32 v3, v3, v86
	v_add_f32_e32 v5, v5, v86
	v_fmac_f32_e32 v85, 0x3ee1c552, v41
	v_fmac_f32_e32 v83, 0x3ee1c552, v41
	v_mul_f32_e32 v51, 0x3f5ff5aa, v89
	v_add_f32_e32 v4, v4, v44
	v_add_f32_e32 v6, v6, v44
	;; [unrolled: 1-line block ×3, first 2 shown]
	v_fmac_f32_e32 v84, 0x3ee1c552, v9
	v_fmac_f32_e32 v52, 0x3ee1c552, v9
	;; [unrolled: 1-line block ×3, first 2 shown]
	v_add_f32_e32 v33, v3, v85
	v_sub_f32_e32 v43, v5, v83
	v_add_f32_e32 v47, v83, v5
	v_sub_f32_e32 v83, v3, v85
	s_waitcnt lgkmcnt(4)
	v_add_f32_e32 v3, v45, v67
	v_add_f32_e32 v9, v59, v53
	v_fma_f32 v51, v34, s5, -v51
	v_add_f32_e32 v88, v42, v44
	v_sub_f32_e32 v34, v4, v84
	v_add_f32_e32 v44, v52, v6
	v_sub_f32_e32 v48, v6, v52
	v_add_f32_e32 v84, v84, v4
	v_add_f32_e32 v4, v46, v68
	v_sub_f32_e32 v5, v45, v67
	v_sub_f32_e32 v6, v46, v68
	v_add_f32_e32 v45, v60, v54
	v_sub_f32_e32 v46, v59, v53
	v_sub_f32_e32 v53, v60, v54
	v_add_f32_e32 v54, v49, v63
	v_add_f32_e32 v59, v50, v64
	v_sub_f32_e32 v49, v63, v49
	v_add_f32_e32 v60, v9, v3
	v_fmac_f32_e32 v51, 0x3ee1c552, v41
	v_sub_f32_e32 v50, v64, v50
	v_add_f32_e32 v63, v45, v4
	v_sub_f32_e32 v64, v9, v3
	v_sub_f32_e32 v67, v45, v4
	;; [unrolled: 1-line block ×5, first 2 shown]
	v_add_f32_e32 v45, v49, v46
	v_add_f32_e32 v54, v54, v60
	;; [unrolled: 1-line block ×3, first 2 shown]
	v_sub_f32_e32 v42, v88, v87
	v_sub_f32_e32 v51, v86, v51
	v_add_f32_e32 v52, v87, v88
	v_sub_f32_e32 v4, v4, v59
	v_add_f32_e32 v85, v50, v53
	v_sub_f32_e32 v86, v49, v46
	v_sub_f32_e32 v87, v50, v53
	;; [unrolled: 1-line block ×4, first 2 shown]
	v_add_f32_e32 v59, v59, v63
	v_add_f32_e32 v5, v45, v5
	;; [unrolled: 1-line block ×3, first 2 shown]
	v_sub_f32_e32 v50, v6, v50
	v_sub_f32_e32 v53, v53, v6
	v_add_f32_e32 v6, v85, v6
	v_add_f32_e32 v46, v56, v59
	v_mul_f32_e32 v85, 0xbf08b237, v86
	v_mul_f32_e32 v86, 0xbf08b237, v87
	v_mov_b32_e32 v87, v45
	v_mul_f32_e32 v3, 0x3f4a47b2, v3
	v_mul_f32_e32 v4, 0x3f4a47b2, v4
	;; [unrolled: 1-line block ×5, first 2 shown]
	v_fmac_f32_e32 v87, 0xbf955555, v54
	v_mov_b32_e32 v54, v46
	v_fmac_f32_e32 v54, 0xbf955555, v59
	v_fma_f32 v55, v64, s4, -v55
	v_fma_f32 v56, v67, s4, -v56
	;; [unrolled: 1-line block ×3, first 2 shown]
	v_fmac_f32_e32 v3, 0x3d64c772, v9
	v_fma_f32 v9, v67, s1, -v4
	v_fmac_f32_e32 v4, 0x3d64c772, v68
	v_fma_f32 v64, v88, s0, -v85
	v_fma_f32 v67, v53, s0, -v86
	v_fmac_f32_e32 v86, 0x3eae86e6, v50
	v_fma_f32 v68, v49, s5, -v60
	v_mul_f32_e32 v63, 0x3f5ff5aa, v53
	v_fmac_f32_e32 v85, 0x3eae86e6, v49
	v_add_f32_e32 v3, v3, v87
	v_add_f32_e32 v60, v55, v87
	;; [unrolled: 1-line block ×4, first 2 shown]
	v_fmac_f32_e32 v86, 0x3ee1c552, v6
	v_fmac_f32_e32 v64, 0x3ee1c552, v5
	;; [unrolled: 1-line block ×4, first 2 shown]
	v_fma_f32 v63, v50, s5, -v63
	v_add_f32_e32 v4, v4, v54
	v_add_f32_e32 v87, v59, v87
	v_fmac_f32_e32 v85, 0x3ee1c552, v5
	v_add_f32_e32 v49, v3, v86
	v_sub_f32_e32 v54, v9, v68
	v_sub_f32_e32 v55, v60, v67
	v_add_f32_e32 v56, v64, v88
	v_add_f32_e32 v59, v67, v60
	v_sub_f32_e32 v60, v88, v64
	v_add_f32_e32 v64, v68, v9
	v_sub_f32_e32 v67, v3, v86
	s_waitcnt lgkmcnt(3)
	v_add_f32_e32 v3, v71, v69
	s_waitcnt lgkmcnt(1)
	v_add_f32_e32 v9, v61, v79
	v_fmac_f32_e32 v63, 0x3ee1c552, v6
	v_sub_f32_e32 v50, v4, v85
	v_add_f32_e32 v68, v85, v4
	v_add_f32_e32 v4, v72, v70
	v_sub_f32_e32 v5, v71, v69
	v_sub_f32_e32 v6, v72, v70
	v_add_f32_e32 v69, v62, v80
	v_add_f32_e32 v70, v75, v65
	;; [unrolled: 1-line block ×4, first 2 shown]
	v_sub_f32_e32 v65, v65, v75
	v_sub_f32_e32 v66, v66, v76
	v_add_f32_e32 v75, v69, v4
	v_sub_f32_e32 v76, v9, v3
	v_sub_f32_e32 v3, v3, v70
	;; [unrolled: 1-line block ×3, first 2 shown]
	v_add_f32_e32 v70, v70, v72
	v_sub_f32_e32 v61, v61, v79
	v_sub_f32_e32 v62, v62, v80
	;; [unrolled: 1-line block ×5, first 2 shown]
	v_add_f32_e32 v71, v71, v75
	v_add_f32_e32 v57, v57, v70
	;; [unrolled: 1-line block ×3, first 2 shown]
	v_sub_f32_e32 v63, v87, v63
	v_add_f32_e32 v85, v66, v62
	v_sub_f32_e32 v87, v66, v62
	v_add_f32_e32 v58, v58, v71
	v_mov_b32_e32 v88, v57
	v_add_f32_e32 v80, v65, v61
	v_sub_f32_e32 v86, v65, v61
	v_sub_f32_e32 v66, v6, v66
	;; [unrolled: 1-line block ×4, first 2 shown]
	v_add_f32_e32 v6, v85, v6
	v_mul_f32_e32 v3, 0x3f4a47b2, v3
	v_mul_f32_e32 v4, 0x3f4a47b2, v4
	;; [unrolled: 1-line block ×5, first 2 shown]
	v_fmac_f32_e32 v88, 0xbf955555, v70
	v_mov_b32_e32 v70, v58
	v_sub_f32_e32 v65, v5, v65
	v_add_f32_e32 v5, v80, v5
	v_mul_f32_e32 v80, 0xbf08b237, v86
	v_mul_f32_e32 v86, 0x3f5ff5aa, v61
	v_fmac_f32_e32 v70, 0xbf955555, v71
	v_fma_f32 v71, v76, s4, -v72
	v_fma_f32 v72, v79, s4, -v75
	;; [unrolled: 1-line block ×3, first 2 shown]
	v_fmac_f32_e32 v3, 0x3d64c772, v9
	v_fma_f32 v9, v79, s1, -v4
	v_fma_f32 v79, v62, s0, -v85
	v_fmac_f32_e32 v85, 0x3eae86e6, v66
	v_mul_f32_e32 v87, 0x3f5ff5aa, v62
	v_fmac_f32_e32 v4, 0x3d64c772, v69
	v_fma_f32 v76, v61, s0, -v80
	v_fmac_f32_e32 v80, 0x3eae86e6, v65
	v_fma_f32 v86, v65, s5, -v86
	v_add_f32_e32 v3, v3, v88
	v_add_f32_e32 v71, v71, v88
	v_fmac_f32_e32 v85, 0x3ee1c552, v6
	v_fmac_f32_e32 v79, 0x3ee1c552, v6
	v_fma_f32 v87, v66, s5, -v87
	v_add_f32_e32 v4, v4, v70
	v_add_f32_e32 v72, v72, v70
	;; [unrolled: 1-line block ×3, first 2 shown]
	v_fmac_f32_e32 v80, 0x3ee1c552, v5
	v_fmac_f32_e32 v76, 0x3ee1c552, v5
	;; [unrolled: 1-line block ×3, first 2 shown]
	v_add_f32_e32 v61, v3, v85
	v_sub_f32_e32 v69, v71, v79
	v_add_f32_e32 v71, v79, v71
	v_sub_f32_e32 v79, v3, v85
	s_waitcnt lgkmcnt(0)
	v_add_f32_e32 v3, v73, v0
	v_add_f32_e32 v5, v27, v81
	v_fmac_f32_e32 v87, 0x3ee1c552, v6
	v_sub_f32_e32 v62, v4, v80
	v_sub_f32_e32 v66, v9, v86
	v_add_f32_e32 v70, v76, v72
	v_sub_f32_e32 v72, v72, v76
	v_add_f32_e32 v76, v86, v9
	v_add_f32_e32 v80, v80, v4
	;; [unrolled: 1-line block ×3, first 2 shown]
	v_sub_f32_e32 v1, v74, v1
	v_add_f32_e32 v6, v28, v82
	v_sub_f32_e32 v9, v27, v81
	v_sub_f32_e32 v27, v28, v82
	v_add_f32_e32 v28, v77, v35
	v_sub_f32_e32 v35, v35, v77
	v_add_f32_e32 v74, v5, v3
	v_sub_f32_e32 v0, v73, v0
	v_add_f32_e32 v73, v78, v36
	v_sub_f32_e32 v36, v36, v78
	v_add_f32_e32 v77, v6, v4
	v_sub_f32_e32 v78, v5, v3
	v_sub_f32_e32 v3, v3, v28
	;; [unrolled: 1-line block ×3, first 2 shown]
	v_add_f32_e32 v82, v35, v9
	v_add_f32_e32 v28, v28, v74
	;; [unrolled: 1-line block ×3, first 2 shown]
	v_sub_f32_e32 v81, v6, v4
	v_sub_f32_e32 v4, v4, v73
	;; [unrolled: 1-line block ×3, first 2 shown]
	v_add_f32_e32 v85, v36, v27
	v_sub_f32_e32 v86, v35, v9
	v_sub_f32_e32 v35, v0, v35
	;; [unrolled: 1-line block ×3, first 2 shown]
	v_add_f32_e32 v73, v73, v77
	v_add_f32_e32 v74, v82, v0
	;; [unrolled: 1-line block ×4, first 2 shown]
	v_sub_f32_e32 v75, v75, v87
	v_sub_f32_e32 v87, v36, v27
	v_sub_f32_e32 v36, v1, v36
	v_sub_f32_e32 v27, v27, v1
	v_add_f32_e32 v77, v85, v1
	v_add_f32_e32 v1, v15, v73
	v_mov_b32_e32 v88, v0
	v_mul_f32_e32 v3, 0x3f4a47b2, v3
	v_mul_f32_e32 v4, 0x3f4a47b2, v4
	;; [unrolled: 1-line block ×4, first 2 shown]
	v_fmac_f32_e32 v88, 0xbf955555, v28
	v_mov_b32_e32 v28, v1
	v_mul_f32_e32 v14, 0x3d64c772, v5
	v_mul_f32_e32 v15, 0x3d64c772, v6
	;; [unrolled: 1-line block ×3, first 2 shown]
	v_fmac_f32_e32 v28, 0xbf955555, v73
	v_fma_f32 v73, v78, s1, -v3
	v_fmac_f32_e32 v3, 0x3d64c772, v5
	v_fma_f32 v5, v81, s1, -v4
	;; [unrolled: 2-line block ×3, first 2 shown]
	v_fma_f32 v9, v27, s0, -v85
	v_fmac_f32_e32 v85, 0x3eae86e6, v36
	v_fma_f32 v14, v78, s4, -v14
	v_add_f32_e32 v3, v3, v88
	v_fmac_f32_e32 v85, 0x3ee1c552, v77
	v_fma_f32 v78, v35, s5, -v86
	v_add_f32_e32 v86, v4, v28
	v_add_f32_e32 v4, v14, v88
	;; [unrolled: 1-line block ×3, first 2 shown]
	v_sub_f32_e32 v90, v3, v85
	v_mul_lo_u16_e32 v3, 7, v189
	v_lshlrev_b32_e32 v3, 3, v3
	s_waitcnt lgkmcnt(0)
	; wave barrier
	ds_write2_b64 v3, v[7:8], v[16:17] offset1:1
	ds_write2_b64 v3, v[22:23], v[29:30] offset0:2 offset1:3
	ds_write2_b64 v3, v[31:32], v[37:38] offset0:4 offset1:5
	buffer_store_dword v3, off, s[20:23], 0 offset:372 ; 4-byte Folded Spill
	ds_write_b64 v3, v[39:40] offset:48
	v_mul_u32_u24_e32 v3, 7, v181
	v_lshlrev_b32_e32 v3, 3, v3
	ds_write2_b64 v3, v[24:25], v[33:34] offset1:1
	ds_write2_b64 v3, v[41:42], v[43:44] offset0:2 offset1:3
	ds_write2_b64 v3, v[47:48], v[51:52] offset0:4 offset1:5
	buffer_store_dword v3, off, s[20:23], 0 offset:376 ; 4-byte Folded Spill
	ds_write_b64 v3, v[83:84] offset:48
	v_mul_u32_u24_e32 v3, 7, v180
	v_lshlrev_b32_e32 v3, 3, v3
	ds_write2_b64 v3, v[45:46], v[49:50] offset1:1
	ds_write2_b64 v3, v[53:54], v[55:56] offset0:2 offset1:3
	ds_write2_b64 v3, v[59:60], v[63:64] offset0:4 offset1:5
	buffer_store_dword v3, off, s[20:23], 0 offset:380 ; 4-byte Folded Spill
	ds_write_b64 v3, v[67:68] offset:48
	v_mul_u32_u24_e32 v3, 7, v182
	v_mul_f32_e32 v87, 0x3f5ff5aa, v27
	v_fma_f32 v15, v81, s4, -v15
	v_fmac_f32_e32 v82, 0x3eae86e6, v35
	v_lshlrev_b32_e32 v3, 3, v3
	v_fma_f32 v81, v36, s5, -v87
	v_add_f32_e32 v87, v15, v28
	v_fmac_f32_e32 v82, 0x3ee1c552, v74
	v_fmac_f32_e32 v6, 0x3ee1c552, v74
	ds_write2_b64 v3, v[57:58], v[61:62] offset1:1
	ds_write2_b64 v3, v[65:66], v[69:70] offset0:2 offset1:3
	ds_write2_b64 v3, v[71:72], v[75:76] offset0:4 offset1:5
	buffer_store_dword v3, off, s[20:23], 0 offset:384 ; 4-byte Folded Spill
	ds_write_b64 v3, v[79:80] offset:48
	v_mul_u32_u24_e32 v3, 7, v184
	v_add_f32_e32 v88, v73, v88
	v_add_f32_e32 v5, v5, v28
	v_fmac_f32_e32 v9, 0x3ee1c552, v77
	v_fmac_f32_e32 v78, 0x3ee1c552, v74
	;; [unrolled: 1-line block ×3, first 2 shown]
	v_sub_f32_e32 v15, v86, v82
	v_add_f32_e32 v36, v6, v87
	v_sub_f32_e32 v74, v87, v6
	v_add_f32_e32 v91, v82, v86
	v_lshlrev_b32_e32 v3, 3, v3
	v_add_u32_e32 v6, 0xc00, v26
	v_add_f32_e32 v27, v81, v88
	v_sub_f32_e32 v28, v5, v78
	v_sub_f32_e32 v35, v4, v9
	v_add_f32_e32 v73, v9, v4
	v_sub_f32_e32 v4, v88, v81
	v_add_f32_e32 v5, v78, v5
	ds_write2_b64 v3, v[0:1], v[14:15] offset1:1
	ds_write2_b64 v3, v[27:28], v[35:36] offset0:2 offset1:3
	ds_write2_b64 v3, v[73:74], v[4:5] offset0:4 offset1:5
	buffer_store_dword v3, off, s[20:23], 0 offset:388 ; 4-byte Folded Spill
	ds_write_b64 v3, v[90:91] offset:48
	s_waitcnt lgkmcnt(0)
	; wave barrier
	s_waitcnt lgkmcnt(0)
	ds_read2_b64 v[84:87], v26 offset1:55
	ds_read2_b64 v[80:83], v26 offset0:110 offset1:175
	ds_read2_b64 v[0:3], v2 offset0:94 offset1:149
	;; [unrolled: 1-line block ×8, first 2 shown]
	v_add_u32_e32 v11, 0x2c00, v26
	ds_read2_b64 v[92:95], v11 offset0:102 offset1:167
	ds_read2_b64 v[144:147], v21 offset0:86 offset1:141
	ds_read2_b64 v[140:143], v20 offset0:102 offset1:157
	ds_read2_b64 v[136:139], v13 offset0:68 offset1:123
	ds_read2_b64 v[128:131], v10 offset0:162 offset1:217
	ds_read2_b64 v[120:123], v12 offset1:55
	ds_read2_b64 v[116:119], v18 offset0:94 offset1:149
	ds_read_b64 v[10:11], v26 offset:14880
	v_addc_co_u32_e64 v183, s[0:1], 0, 0, vcc
	v_cmp_gt_u16_e64 s[0:1], 10, v189
                                        ; implicit-def: $vgpr12
	s_and_saveexec_b64 s[4:5], s[0:1]
	s_cbranch_execz .LBB0_3
; %bb.2:
	v_add_u32_e32 v4, 0x1a00, v26
	ds_read2_b64 v[88:91], v20 offset0:37 offset1:212
	ds_read2_b64 v[132:135], v13 offset0:3 offset1:178
	;; [unrolled: 1-line block ×5, first 2 shown]
	ds_read_b64 v[12:13], v26 offset:15320
	s_waitcnt lgkmcnt(5)
	v_mov_b32_e32 v4, v88
	v_mov_b32_e32 v5, v89
.LBB0_3:
	s_or_b64 exec, exec, s[4:5]
	v_mov_b32_e32 v18, 37
	v_mul_lo_u16_sdwa v19, v189, v18 dst_sel:DWORD dst_unused:UNUSED_PAD src0_sel:BYTE_0 src1_sel:DWORD
	v_sub_u16_sdwa v20, v189, v19 dst_sel:DWORD dst_unused:UNUSED_PAD src0_sel:DWORD src1_sel:BYTE_1
	v_lshrrev_b16_e32 v20, 1, v20
	v_and_b32_e32 v20, 0x7f, v20
	v_add_u16_sdwa v19, v20, v19 dst_sel:DWORD dst_unused:UNUSED_PAD src0_sel:DWORD src1_sel:BYTE_1
	v_lshrrev_b16_e32 v24, 2, v19
	v_mul_lo_u16_e32 v19, 7, v24
	v_sub_u16_e32 v19, v189, v19
	v_and_b32_e32 v25, 0xff, v19
	v_mul_u32_u24_e32 v19, 10, v25
	v_lshlrev_b32_e32 v19, 3, v19
	global_load_dwordx4 v[173:176], v19, s[14:15]
	global_load_dwordx4 v[159:162], v19, s[14:15] offset:16
	v_mul_lo_u16_sdwa v20, v181, v18 dst_sel:DWORD dst_unused:UNUSED_PAD src0_sel:BYTE_0 src1_sel:DWORD
	v_sub_u16_sdwa v21, v181, v20 dst_sel:DWORD dst_unused:UNUSED_PAD src0_sel:DWORD src1_sel:BYTE_1
	v_lshrrev_b16_e32 v21, 1, v21
	v_and_b32_e32 v21, 0x7f, v21
	v_add_u16_sdwa v20, v21, v20 dst_sel:DWORD dst_unused:UNUSED_PAD src0_sel:DWORD src1_sel:BYTE_1
	v_lshrrev_b16_e32 v27, 2, v20
	v_mul_lo_u16_e32 v20, 7, v27
	v_sub_u16_e32 v20, v181, v20
	v_and_b32_e32 v152, 0xff, v20
	v_mul_lo_u16_sdwa v20, v180, v18 dst_sel:DWORD dst_unused:UNUSED_PAD src0_sel:BYTE_0 src1_sel:DWORD
	v_sub_u16_sdwa v21, v180, v20 dst_sel:DWORD dst_unused:UNUSED_PAD src0_sel:DWORD src1_sel:BYTE_1
	v_lshrrev_b16_e32 v21, 1, v21
	v_and_b32_e32 v21, 0x7f, v21
	v_add_u16_sdwa v20, v21, v20 dst_sel:DWORD dst_unused:UNUSED_PAD src0_sel:DWORD src1_sel:BYTE_1
	v_lshrrev_b16_e32 v153, 2, v20
	v_mul_lo_u16_e32 v20, 7, v153
	global_load_dwordx4 v[36:39], v19, s[14:15] offset:48
	global_load_dwordx4 v[48:51], v19, s[14:15] offset:32
	;; [unrolled: 1-line block ×3, first 2 shown]
	v_mul_u32_u24_e32 v19, 10, v152
	v_sub_u16_e32 v20, v180, v20
	v_lshlrev_b32_e32 v19, 3, v19
	v_and_b32_e32 v154, 0xff, v20
	global_load_dwordx4 v[40:43], v19, s[14:15]
	global_load_dwordx4 v[32:35], v19, s[14:15] offset:16
	global_load_dwordx4 v[190:193], v19, s[14:15] offset:32
	v_mul_u32_u24_e32 v20, 10, v154
	v_lshlrev_b32_e32 v20, 3, v20
	global_load_dwordx4 v[76:79], v19, s[14:15] offset:48
	global_load_dwordx4 v[68:71], v19, s[14:15] offset:64
	;; [unrolled: 1-line block ×5, first 2 shown]
	global_load_dwordx4 v[64:67], v20, s[14:15]
	v_mul_lo_u16_sdwa v18, v182, v18 dst_sel:DWORD dst_unused:UNUSED_PAD src0_sel:BYTE_0 src1_sel:DWORD
	s_mov_b32 s6, 0x3f575c64
	s_mov_b32 s4, 0x3ed4b147
	;; [unrolled: 1-line block ×5, first 2 shown]
	v_mul_u32_u24_e32 v24, 0x4d, v24
	v_add_lshl_u32 v24, v24, v25, 3
	s_waitcnt vmcnt(13) lgkmcnt(14)
	v_mul_f32_e32 v19, v83, v174
	v_mul_f32_e32 v21, v82, v174
	;; [unrolled: 1-line block ×4, first 2 shown]
	v_fma_f32 v19, v82, v173, -v19
	v_fmac_f32_e32 v21, v83, v173
	v_fma_f32 v22, v0, v175, -v22
	buffer_store_dword v173, off, s[20:23], 0 offset:408 ; 4-byte Folded Spill
	s_nop 0
	buffer_store_dword v174, off, s[20:23], 0 offset:412 ; 4-byte Folded Spill
	buffer_store_dword v175, off, s[20:23], 0 offset:416 ; 4-byte Folded Spill
	;; [unrolled: 1-line block ×3, first 2 shown]
	v_sub_u16_sdwa v0, v182, v18 dst_sel:DWORD dst_unused:UNUSED_PAD src0_sel:DWORD src1_sel:BYTE_1
	v_lshrrev_b16_e32 v0, 1, v0
	v_and_b32_e32 v0, 0x7f, v0
	v_add_u16_sdwa v0, v0, v18 dst_sel:DWORD dst_unused:UNUSED_PAD src0_sel:DWORD src1_sel:BYTE_1
	s_waitcnt vmcnt(16) lgkmcnt(13)
	v_mul_f32_e32 v28, v107, v160
	v_mul_f32_e32 v29, v106, v160
	s_waitcnt lgkmcnt(12)
	v_mul_f32_e32 v30, v149, v162
	v_lshrrev_b16_e32 v0, 2, v0
	v_mul_f32_e32 v31, v148, v162
	v_fma_f32 v28, v106, v159, -v28
	v_fmac_f32_e32 v29, v107, v159
	v_fma_f32 v30, v148, v161, -v30
	buffer_store_dword v159, off, s[20:23], 0 offset:392 ; 4-byte Folded Spill
	s_nop 0
	buffer_store_dword v160, off, s[20:23], 0 offset:396 ; 4-byte Folded Spill
	buffer_store_dword v161, off, s[20:23], 0 offset:400 ; 4-byte Folded Spill
	;; [unrolled: 1-line block ×4, first 2 shown]
	v_mul_lo_u16_e32 v0, 7, v0
	v_sub_u16_e32 v0, v182, v0
	s_waitcnt vmcnt(17) lgkmcnt(5)
	v_mul_f32_e32 v157, v141, v41
	v_and_b32_e32 v0, 0xff, v0
	v_mul_f32_e32 v170, v14, v39
	v_mul_f32_e32 v155, v95, v45
	;; [unrolled: 1-line block ×3, first 2 shown]
	v_fma_f32 v166, v140, v40, -v157
	buffer_store_dword v0, off, s[20:23], 0 offset:368 ; 4-byte Folded Spill
	v_mul_u32_u24_e32 v0, 10, v0
	v_mul_f32_e32 v72, v103, v49
	v_mul_f32_e32 v73, v7, v51
	;; [unrolled: 1-line block ×5, first 2 shown]
	v_fmac_f32_e32 v170, v15, v38
	v_fma_f32 v15, v94, v44, -v155
	v_fmac_f32_e32 v171, v95, v44
	v_lshlrev_b32_e32 v0, 3, v0
	s_waitcnt vmcnt(16) lgkmcnt(3)
	v_mul_f32_e32 v95, v128, v191
	v_fma_f32 v82, v102, v48, -v72
	v_fma_f32 v6, v6, v50, -v73
	v_fmac_f32_e32 v89, v7, v50
	v_fma_f32 v7, v98, v36, -v74
	v_fma_f32 v14, v14, v38, -v75
	global_load_dwordx4 v[72:75], v20, s[14:15] offset:64
	global_load_dwordx4 v[194:197], v0, s[14:15]
	v_fmac_f32_e32 v95, v129, v190
	v_mul_f32_e32 v107, v8, v193
	v_mul_f32_e32 v158, v3, v43
	v_fma_f32 v163, v2, v42, -v158
	v_mul_f32_e32 v158, v150, v35
	v_fmac_f32_e32 v158, v151, v34
	v_mul_f32_e32 v156, v145, v47
	v_mul_f32_e32 v172, v144, v47
	v_fma_f32 v83, v144, v46, -v156
	v_mul_f32_e32 v88, v102, v49
	v_mul_f32_e32 v169, v98, v37
	v_fmac_f32_e32 v88, v103, v48
	s_waitcnt vmcnt(13)
	v_mul_f32_e32 v103, v100, v63
	s_waitcnt lgkmcnt(1)
	v_mul_f32_e32 v168, v116, v69
	v_mul_f32_e32 v173, v146, v71
	v_fmac_f32_e32 v169, v99, v36
	v_fmac_f32_e32 v103, v101, v62
	v_mul_f32_e32 v99, v130, v57
	v_fmac_f32_e32 v99, v131, v56
	v_mul_f32_e32 v165, v140, v41
	v_fmac_f32_e32 v172, v145, v46
	s_waitcnt vmcnt(12)
	v_mul_f32_e32 v155, v142, v65
	v_mul_f32_e32 v145, v138, v61
	v_fmac_f32_e32 v165, v141, v40
	v_fmac_f32_e32 v155, v143, v64
	v_fmac_f32_e32 v145, v139, v60
	v_mul_f32_e32 v164, v2, v43
	v_fmac_f32_e32 v164, v3, v42
	v_mul_f32_e32 v162, v16, v79
	v_fmac_f32_e32 v173, v147, v70
	v_add_f32_e32 v2, v19, v83
	v_add_f32_e32 v3, v21, v172
	v_fmac_f32_e32 v162, v17, v78
	v_fmac_f32_e32 v168, v117, v68
	;; [unrolled: 1-line block ×3, first 2 shown]
	v_mul_f32_e32 v1, v137, v33
	v_fma_f32 v160, v136, v32, -v1
	v_mul_f32_e32 v1, v151, v35
	v_fma_f32 v157, v150, v34, -v1
	;; [unrolled: 2-line block ×3, first 2 shown]
	v_mul_f32_e32 v1, v9, v193
	global_load_dwordx4 v[174:177], v0, s[14:15] offset:32
	global_load_dwordx4 v[185:188], v0, s[14:15] offset:16
	v_fma_f32 v106, v8, v192, -v1
	buffer_store_dword v190, off, s[20:23], 0 offset:424 ; 4-byte Folded Spill
	s_nop 0
	buffer_store_dword v191, off, s[20:23], 0 offset:428 ; 4-byte Folded Spill
	buffer_store_dword v192, off, s[20:23], 0 offset:432 ; 4-byte Folded Spill
	;; [unrolled: 1-line block ×3, first 2 shown]
	v_mul_f32_e32 v1, v121, v77
	v_fma_f32 v159, v120, v76, -v1
	v_mul_f32_e32 v120, v120, v77
	v_mul_f32_e32 v1, v17, v79
	v_fmac_f32_e32 v120, v121, v76
	v_fma_f32 v121, v16, v78, -v1
	v_mul_f32_e32 v1, v117, v69
	v_fma_f32 v167, v116, v68, -v1
	v_fmac_f32_e32 v31, v149, v161
	v_mul_f32_e32 v161, v136, v33
	v_fmac_f32_e32 v161, v137, v32
	v_sub_f32_e32 v8, v19, v83
	v_mul_f32_e32 v149, v104, v67
	v_mul_f32_e32 v18, 0xbf68dda4, v8
	v_fmac_f32_e32 v149, v105, v66
	v_add_f32_e32 v1, v85, v21
	v_add_f32_e32 v1, v1, v23
	;; [unrolled: 1-line block ×6, first 2 shown]
	v_mul_f32_e32 v117, v122, v53
	v_fmac_f32_e32 v117, v123, v52
	v_add_f32_e32 v1, v1, v169
	v_add_f32_e32 v1, v1, v170
	;; [unrolled: 1-line block ×4, first 2 shown]
	global_load_dwordx4 v[198:201], v0, s[14:15] offset:64
	s_waitcnt vmcnt(8) lgkmcnt(0)
	v_mul_f32_e32 v156, v10, v75
	v_fmac_f32_e32 v156, v11, v74
	v_fmac_f32_e32 v107, v9, v192
	global_load_dwordx4 v[190:193], v0, s[14:15] offset:48
	v_mul_f32_e32 v0, v147, v71
	v_fma_f32 v20, v146, v70, -v0
	v_mul_f32_e32 v0, v143, v65
	v_fma_f32 v151, v142, v64, -v0
	v_mul_f32_e32 v0, v105, v67
	v_fma_f32 v148, v104, v66, -v0
	v_mul_f32_e32 v0, v139, v61
	v_fma_f32 v144, v138, v60, -v0
	v_mul_f32_e32 v0, v101, v63
	v_fma_f32 v102, v100, v62, -v0
	v_mul_f32_e32 v0, v131, v57
	v_fma_f32 v98, v130, v56, -v0
	v_mul_f32_e32 v0, v97, v59
	v_fma_f32 v100, v96, v58, -v0
	v_mul_f32_e32 v0, v123, v53
	v_fma_f32 v116, v122, v52, -v0
	v_mul_f32_e32 v0, v93, v55
	v_fma_f32 v146, v92, v54, -v0
	v_mul_f32_e32 v0, v119, v73
	v_fma_f32 v150, v118, v72, -v0
	v_mul_f32_e32 v118, v118, v73
	v_mul_f32_e32 v0, v11, v75
	v_fmac_f32_e32 v118, v119, v72
	v_fma_f32 v119, v10, v74, -v0
	s_waitcnt vmcnt(8)
	v_mul_f32_e32 v0, v91, v195
	v_mul_f32_e32 v101, v96, v59
	v_fma_f32 v96, v90, v194, -v0
	v_mul_f32_e32 v130, v90, v195
	v_mul_f32_e32 v0, v133, v197
	v_fmac_f32_e32 v101, v97, v58
	v_fmac_f32_e32 v130, v91, v194
	v_fma_f32 v97, v132, v196, -v0
	v_mul_f32_e32 v132, v132, v197
	buffer_store_dword v194, off, s[20:23], 0 offset:524 ; 4-byte Folded Spill
	s_nop 0
	buffer_store_dword v195, off, s[20:23], 0 offset:528 ; 4-byte Folded Spill
	buffer_store_dword v196, off, s[20:23], 0 offset:532 ; 4-byte Folded Spill
	;; [unrolled: 1-line block ×3, first 2 shown]
	s_waitcnt vmcnt(10)
	v_mul_f32_e32 v0, v135, v186
	v_fma_f32 v128, v134, v185, -v0
	v_mul_f32_e32 v0, v125, v188
	v_fma_f32 v129, v124, v187, -v0
	;; [unrolled: 2-line block ×3, first 2 shown]
	v_mul_f32_e32 v0, v109, v177
	v_mul_f32_e32 v136, v126, v175
	v_fma_f32 v126, v108, v176, -v0
	v_fmac_f32_e32 v136, v127, v174
	v_mul_f32_e32 v138, v108, v177
	v_sub_f32_e32 v9, v21, v172
	v_mul_f32_e32 v90, 0xbf7d64f0, v8
	v_mul_f32_e32 v104, 0xbf4178ce, v8
	v_mul_f32_e32 v147, v92, v55
	v_mul_f32_e32 v10, 0xbf0a6770, v9
	v_mul_f32_e32 v16, 0xbf68dda4, v9
	v_mul_f32_e32 v21, 0xbf7d64f0, v9
	v_mov_b32_e32 v91, v90
	v_mul_f32_e32 v92, 0xbf4178ce, v9
	v_mov_b32_e32 v105, v104
	v_mul_f32_e32 v9, 0xbe903f40, v9
	v_fmac_f32_e32 v91, 0xbe11bafb, v3
	v_fma_f32 v90, v3, s5, -v90
	v_fmac_f32_e32 v105, 0xbf27a4f4, v3
	v_fma_f32 v104, v3, s7, -v104
	v_fma_f32 v108, v2, s16, -v9
	v_fmac_f32_e32 v9, 0xbf75a155, v2
	v_fmac_f32_e32 v147, v93, v54
	v_fma_f32 v11, v2, s6, -v10
	v_fmac_f32_e32 v10, 0x3f575c64, v2
	v_fma_f32 v17, v2, s4, -v16
	s_waitcnt vmcnt(5)
	v_mul_f32_e32 v142, v114, v199
	v_fmac_f32_e32 v142, v115, v198
	v_mul_f32_e32 v143, v12, v201
	v_fmac_f32_e32 v16, 0x3ed4b147, v2
	v_fma_f32 v93, v2, s7, -v92
	v_fmac_f32_e32 v92, 0xbf27a4f4, v2
	v_add_f32_e32 v11, v84, v11
	v_add_f32_e32 v10, v84, v10
	;; [unrolled: 1-line block ×7, first 2 shown]
	s_waitcnt vmcnt(4)
	v_mul_f32_e32 v0, v111, v191
	v_fma_f32 v127, v110, v190, -v0
	v_mul_f32_e32 v0, v113, v193
	v_mul_f32_e32 v140, v110, v191
	v_fmac_f32_e32 v140, v111, v190
	v_mul_f32_e32 v141, v112, v193
	v_add_f32_e32 v91, v85, v91
	v_add_f32_e32 v90, v85, v90
	;; [unrolled: 1-line block ×4, first 2 shown]
	v_fmac_f32_e32 v132, v133, v196
	v_mul_f32_e32 v133, v134, v186
	v_fmac_f32_e32 v133, v135, v185
	v_fma_f32 v135, v112, v192, -v0
	v_mul_f32_e32 v0, v115, v199
	v_fma_f32 v137, v114, v198, -v0
	v_mul_f32_e32 v0, v13, v201
	v_mul_f32_e32 v134, v124, v188
	buffer_store_dword v185, off, s[20:23], 0 offset:492 ; 4-byte Folded Spill
	s_nop 0
	buffer_store_dword v186, off, s[20:23], 0 offset:496 ; 4-byte Folded Spill
	buffer_store_dword v187, off, s[20:23], 0 offset:500 ; 4-byte Folded Spill
	buffer_store_dword v188, off, s[20:23], 0 offset:504 ; 4-byte Folded Spill
	buffer_store_dword v174, off, s[20:23], 0 offset:476 ; 4-byte Folded Spill
	s_nop 0
	buffer_store_dword v175, off, s[20:23], 0 offset:480 ; 4-byte Folded Spill
	buffer_store_dword v176, off, s[20:23], 0 offset:484 ; 4-byte Folded Spill
	buffer_store_dword v177, off, s[20:23], 0 offset:488 ; 4-byte Folded Spill
	;; [unrolled: 5-line block ×3, first 2 shown]
	v_fma_f32 v139, v12, v200, -v0
	buffer_store_dword v198, off, s[20:23], 0 offset:540 ; 4-byte Folded Spill
	s_nop 0
	buffer_store_dword v199, off, s[20:23], 0 offset:544 ; 4-byte Folded Spill
	buffer_store_dword v200, off, s[20:23], 0 offset:548 ; 4-byte Folded Spill
	;; [unrolled: 1-line block ×3, first 2 shown]
	v_add_f32_e32 v0, v84, v19
	v_add_f32_e32 v0, v0, v22
	;; [unrolled: 1-line block ×7, first 2 shown]
	v_mul_f32_e32 v12, 0xbf0a6770, v8
	v_mul_f32_e32 v8, 0xbe903f40, v8
	v_add_f32_e32 v0, v0, v14
	v_mov_b32_e32 v19, v18
	v_add_f32_e32 v0, v0, v15
	v_fmac_f32_e32 v19, 0x3ed4b147, v3
	v_fma_f32 v18, v3, s4, -v18
	v_add_f32_e32 v0, v0, v83
	v_fma_f32 v83, v2, s5, -v21
	v_fmac_f32_e32 v21, 0xbe11bafb, v2
	v_add_f32_e32 v2, v84, v9
	v_add_f32_e32 v9, v23, v171
	;; [unrolled: 1-line block ×6, first 2 shown]
	v_fmac_f32_e32 v134, v125, v187
	v_fmac_f32_e32 v138, v109, v176
	v_mov_b32_e32 v109, v8
	v_fmac_f32_e32 v109, 0xbf75a155, v3
	v_fmac_f32_e32 v143, v13, v200
	v_mov_b32_e32 v13, v12
	v_fmac_f32_e32 v13, 0x3f575c64, v3
	v_fma_f32 v12, v3, s6, -v12
	v_fma_f32 v3, v3, s16, -v8
	v_add_f32_e32 v8, v22, v15
	v_sub_f32_e32 v15, v22, v15
	v_sub_f32_e32 v22, v23, v171
	v_mul_f32_e32 v23, 0xbf68dda4, v22
	v_fma_f32 v84, v8, s4, -v23
	v_add_f32_e32 v11, v84, v11
	v_mul_f32_e32 v84, 0xbf68dda4, v15
	v_fmac_f32_e32 v23, 0x3ed4b147, v8
	v_add_f32_e32 v12, v85, v12
	v_add_f32_e32 v10, v23, v10
	v_fma_f32 v23, v9, s4, -v84
	v_add_f32_e32 v12, v23, v12
	v_mul_f32_e32 v23, 0xbf4178ce, v22
	v_add_f32_e32 v13, v85, v13
	v_add_f32_e32 v109, v85, v109
	;; [unrolled: 1-line block ×3, first 2 shown]
	v_mov_b32_e32 v85, v84
	v_fma_f32 v84, v8, s7, -v23
	v_add_f32_e32 v17, v84, v17
	v_mul_f32_e32 v84, 0xbf4178ce, v15
	v_fmac_f32_e32 v23, 0xbf27a4f4, v8
	v_add_f32_e32 v16, v23, v16
	v_fma_f32 v23, v9, s7, -v84
	v_fmac_f32_e32 v85, 0x3ed4b147, v9
	v_add_f32_e32 v18, v23, v18
	v_mul_f32_e32 v23, 0x3e903f40, v22
	v_add_f32_e32 v13, v85, v13
	v_mov_b32_e32 v85, v84
	v_fma_f32 v84, v8, s16, -v23
	v_fmac_f32_e32 v85, 0xbf27a4f4, v9
	v_add_f32_e32 v83, v84, v83
	v_mul_f32_e32 v84, 0x3e903f40, v15
	v_add_f32_e32 v19, v85, v19
	v_mov_b32_e32 v85, v84
	v_fmac_f32_e32 v23, 0xbf75a155, v8
	v_fmac_f32_e32 v85, 0xbf75a155, v9
	v_add_f32_e32 v21, v23, v21
	v_fma_f32 v23, v9, s16, -v84
	v_mul_f32_e32 v84, 0x3f7d64f0, v22
	v_add_f32_e32 v85, v85, v91
	v_add_f32_e32 v23, v23, v90
	v_fma_f32 v90, v8, s5, -v84
	v_mul_f32_e32 v91, 0x3f7d64f0, v15
	v_add_f32_e32 v90, v90, v93
	v_mov_b32_e32 v93, v91
	v_fmac_f32_e32 v84, 0xbe11bafb, v8
	v_fma_f32 v91, v9, s5, -v91
	v_mul_f32_e32 v22, 0x3f0a6770, v22
	v_mul_f32_e32 v15, 0x3f0a6770, v15
	v_add_f32_e32 v84, v84, v92
	v_add_f32_e32 v91, v91, v104
	v_fma_f32 v92, v8, s6, -v22
	v_mov_b32_e32 v104, v15
	v_fmac_f32_e32 v22, 0x3f575c64, v8
	v_fma_f32 v8, v9, s6, -v15
	v_sub_f32_e32 v15, v29, v170
	v_add_f32_e32 v2, v22, v2
	v_add_f32_e32 v3, v8, v3
	;; [unrolled: 1-line block ×3, first 2 shown]
	v_mul_f32_e32 v22, 0xbf7d64f0, v15
	v_sub_f32_e32 v14, v28, v14
	v_fma_f32 v28, v8, s5, -v22
	v_fmac_f32_e32 v93, 0xbe11bafb, v9
	v_fmac_f32_e32 v104, 0x3f575c64, v9
	v_add_f32_e32 v9, v29, v170
	v_add_f32_e32 v11, v28, v11
	v_mul_f32_e32 v28, 0xbf7d64f0, v14
	v_fmac_f32_e32 v22, 0xbe11bafb, v8
	v_add_f32_e32 v10, v22, v10
	v_fma_f32 v22, v9, s5, -v28
	v_add_f32_e32 v12, v22, v12
	v_mul_f32_e32 v22, 0x3e903f40, v15
	v_mov_b32_e32 v29, v28
	v_fma_f32 v28, v8, s16, -v22
	v_fmac_f32_e32 v29, 0xbe11bafb, v9
	v_add_f32_e32 v17, v28, v17
	v_mul_f32_e32 v28, 0x3e903f40, v14
	v_fmac_f32_e32 v22, 0xbf75a155, v8
	v_add_f32_e32 v13, v29, v13
	v_mov_b32_e32 v29, v28
	v_add_f32_e32 v16, v22, v16
	v_fma_f32 v22, v9, s16, -v28
	v_fmac_f32_e32 v29, 0xbf75a155, v9
	v_add_f32_e32 v18, v22, v18
	v_mul_f32_e32 v22, 0x3f68dda4, v15
	v_add_f32_e32 v19, v29, v19
	v_fma_f32 v28, v8, s4, -v22
	v_mul_f32_e32 v29, 0x3f68dda4, v14
	v_fmac_f32_e32 v22, 0x3ed4b147, v8
	v_add_f32_e32 v28, v28, v83
	v_mov_b32_e32 v83, v29
	v_add_f32_e32 v21, v22, v21
	v_fma_f32 v22, v9, s4, -v29
	v_fmac_f32_e32 v83, 0x3ed4b147, v9
	v_add_f32_e32 v22, v22, v23
	v_mul_f32_e32 v23, 0xbf0a6770, v15
	v_add_f32_e32 v83, v83, v85
	v_fma_f32 v29, v8, s6, -v23
	v_mul_f32_e32 v85, 0xbf0a6770, v14
	v_fmac_f32_e32 v23, 0x3f575c64, v8
	v_add_f32_e32 v23, v23, v84
	v_fma_f32 v84, v9, s6, -v85
	v_mul_f32_e32 v15, 0xbf4178ce, v15
	v_mul_f32_e32 v14, 0xbf4178ce, v14
	v_add_f32_e32 v29, v29, v90
	v_mov_b32_e32 v90, v85
	v_add_f32_e32 v84, v84, v91
	v_fma_f32 v85, v8, s7, -v15
	v_mov_b32_e32 v91, v14
	v_fmac_f32_e32 v15, 0xbf27a4f4, v8
	v_fma_f32 v8, v9, s7, -v14
	v_sub_f32_e32 v14, v31, v169
	v_add_f32_e32 v2, v15, v2
	v_add_f32_e32 v3, v8, v3
	;; [unrolled: 1-line block ×3, first 2 shown]
	v_mul_f32_e32 v15, 0xbf4178ce, v14
	v_sub_f32_e32 v7, v30, v7
	v_fma_f32 v30, v8, s7, -v15
	v_fmac_f32_e32 v90, 0x3f575c64, v9
	v_fmac_f32_e32 v91, 0xbf27a4f4, v9
	v_add_f32_e32 v9, v31, v169
	v_add_f32_e32 v11, v30, v11
	v_mul_f32_e32 v30, 0xbf4178ce, v7
	v_fmac_f32_e32 v15, 0xbf27a4f4, v8
	v_add_f32_e32 v10, v15, v10
	v_fma_f32 v15, v9, s7, -v30
	v_add_f32_e32 v12, v15, v12
	v_mul_f32_e32 v15, 0x3f7d64f0, v14
	v_mov_b32_e32 v31, v30
	v_fma_f32 v30, v8, s5, -v15
	v_add_f32_e32 v17, v30, v17
	v_mul_f32_e32 v30, 0x3f7d64f0, v7
	v_fmac_f32_e32 v15, 0xbe11bafb, v8
	v_add_f32_e32 v15, v15, v16
	v_fma_f32 v16, v9, s5, -v30
	v_fmac_f32_e32 v31, 0xbf27a4f4, v9
	v_add_f32_e32 v16, v16, v18
	v_mul_f32_e32 v18, 0xbf0a6770, v14
	v_add_f32_e32 v13, v31, v13
	v_mov_b32_e32 v31, v30
	v_fma_f32 v30, v8, s6, -v18
	v_add_f32_e32 v28, v30, v28
	v_mul_f32_e32 v30, 0xbf0a6770, v7
	v_fmac_f32_e32 v18, 0x3f575c64, v8
	v_add_f32_e32 v18, v18, v21
	v_fma_f32 v21, v9, s6, -v30
	v_fmac_f32_e32 v31, 0xbe11bafb, v9
	v_add_f32_e32 v21, v21, v22
	v_mul_f32_e32 v22, 0xbe903f40, v14
	v_add_f32_e32 v19, v31, v19
	v_mov_b32_e32 v31, v30
	v_fma_f32 v30, v8, s16, -v22
	v_add_f32_e32 v29, v30, v29
	v_mul_f32_e32 v30, 0xbe903f40, v7
	v_fmac_f32_e32 v22, 0xbf75a155, v8
	v_add_f32_e32 v22, v22, v23
	v_fma_f32 v23, v9, s16, -v30
	v_mul_f32_e32 v7, 0x3f68dda4, v7
	v_add_f32_e32 v92, v92, v108
	v_add_f32_e32 v104, v104, v109
	v_fmac_f32_e32 v31, 0x3f575c64, v9
	v_add_f32_e32 v23, v23, v84
	v_mul_f32_e32 v14, 0x3f68dda4, v14
	v_mov_b32_e32 v84, v7
	v_add_f32_e32 v93, v93, v105
	v_add_f32_e32 v85, v85, v92
	;; [unrolled: 1-line block ×4, first 2 shown]
	v_mov_b32_e32 v83, v30
	v_fma_f32 v30, v8, s4, -v14
	v_fmac_f32_e32 v84, 0x3ed4b147, v9
	v_fmac_f32_e32 v14, 0x3ed4b147, v8
	v_add_f32_e32 v90, v90, v93
	v_fmac_f32_e32 v83, 0xbf75a155, v9
	v_add_f32_e32 v30, v30, v85
	v_add_f32_e32 v84, v84, v91
	;; [unrolled: 1-line block ×3, first 2 shown]
	v_fma_f32 v2, v9, s4, -v7
	v_add_f32_e32 v91, v82, v6
	v_sub_f32_e32 v93, v82, v6
	v_sub_f32_e32 v82, v88, v89
	v_add_f32_e32 v83, v83, v90
	v_add_f32_e32 v90, v2, v3
	v_mul_f32_e32 v2, 0xbe903f40, v82
	v_fma_f32 v3, v91, s16, -v2
	v_add_f32_e32 v8, v3, v11
	v_mul_f32_e32 v3, 0xbe903f40, v93
	v_add_f32_e32 v92, v88, v89
	v_mov_b32_e32 v6, v3
	v_fmac_f32_e32 v6, 0xbf75a155, v92
	v_fma_f32 v3, v92, s16, -v3
	v_add_f32_e32 v9, v6, v13
	v_add_f32_e32 v3, v3, v12
	v_mul_f32_e32 v6, 0x3f0a6770, v82
	v_mul_f32_e32 v12, 0xbf4178ce, v82
	v_fmac_f32_e32 v2, 0xbf75a155, v91
	v_fma_f32 v7, v91, s6, -v6
	v_fma_f32 v13, v91, s7, -v12
	v_add_f32_e32 v2, v2, v10
	v_add_f32_e32 v10, v7, v17
	v_mul_f32_e32 v7, 0x3f0a6770, v93
	v_fmac_f32_e32 v6, 0x3f575c64, v91
	v_add_f32_e32 v14, v13, v28
	v_mul_f32_e32 v13, 0xbf4178ce, v93
	v_fmac_f32_e32 v12, 0xbf27a4f4, v91
	v_mov_b32_e32 v11, v7
	v_add_f32_e32 v6, v6, v15
	v_fma_f32 v7, v92, s6, -v7
	v_mov_b32_e32 v15, v13
	v_add_f32_e32 v12, v12, v18
	v_fma_f32 v13, v92, s7, -v13
	v_mul_f32_e32 v18, 0x3f68dda4, v82
	v_fmac_f32_e32 v11, 0x3f575c64, v92
	v_add_f32_e32 v7, v7, v16
	v_add_f32_e32 v13, v13, v21
	v_fma_f32 v16, v91, s4, -v18
	v_fmac_f32_e32 v18, 0x3ed4b147, v91
	v_mul_f32_e32 v21, 0xbf7d64f0, v82
	v_add_f32_e32 v11, v11, v19
	v_mul_f32_e32 v19, 0x3f68dda4, v93
	v_add_f32_e32 v18, v18, v22
	v_fma_f32 v22, v91, s5, -v21
	v_mov_b32_e32 v17, v19
	v_fma_f32 v19, v92, s4, -v19
	v_add_f32_e32 v82, v22, v30
	v_mul_f32_e32 v22, 0xbf7d64f0, v93
	v_add_f32_e32 v19, v19, v23
	v_mov_b32_e32 v23, v22
	v_fmac_f32_e32 v17, 0x3ed4b147, v92
	v_fmac_f32_e32 v23, 0xbe11bafb, v92
	;; [unrolled: 1-line block ×3, first 2 shown]
	v_add_f32_e32 v17, v17, v83
	v_add_f32_e32 v83, v23, v84
	;; [unrolled: 1-line block ×3, first 2 shown]
	v_fma_f32 v21, v92, s5, -v22
	v_add_f32_e32 v85, v21, v90
	v_add_f32_e32 v21, v86, v166
	;; [unrolled: 1-line block ×20, first 2 shown]
	v_sub_f32_e32 v20, v166, v20
	v_fmac_f32_e32 v15, 0xbf27a4f4, v92
	v_add_f32_e32 v22, v22, v168
	v_mul_f32_e32 v30, 0xbf0a6770, v20
	v_mul_f32_e32 v92, 0xbf68dda4, v20
	;; [unrolled: 1-line block ×5, first 2 shown]
	v_fmac_f32_e32 v141, v113, v192
	v_add_f32_e32 v15, v15, v31
	v_add_f32_e32 v89, v22, v173
	;; [unrolled: 1-line block ×3, first 2 shown]
	v_mov_b32_e32 v31, v30
	v_mov_b32_e32 v93, v92
	;; [unrolled: 1-line block ×5, first 2 shown]
	v_sub_f32_e32 v23, v165, v173
	v_fmac_f32_e32 v31, 0x3f575c64, v22
	v_fma_f32 v30, v22, s6, -v30
	v_fmac_f32_e32 v93, 0x3ed4b147, v22
	v_fma_f32 v92, v22, s4, -v92
	;; [unrolled: 2-line block ×5, first 2 shown]
	v_mul_f32_e32 v28, 0xbf0a6770, v23
	v_add_f32_e32 v31, v87, v31
	v_add_f32_e32 v30, v87, v30
	v_mul_f32_e32 v90, 0xbf68dda4, v23
	v_add_f32_e32 v93, v87, v93
	v_add_f32_e32 v92, v87, v92
	;; [unrolled: 3-line block ×5, first 2 shown]
	v_sub_f32_e32 v87, v164, v168
	v_add_f32_e32 v16, v16, v29
	v_fma_f32 v29, v21, s6, -v28
	v_fmac_f32_e32 v28, 0x3f575c64, v21
	v_fma_f32 v91, v21, s4, -v90
	v_fmac_f32_e32 v90, 0x3ed4b147, v21
	;; [unrolled: 2-line block ×5, first 2 shown]
	v_add_f32_e32 v22, v163, v167
	v_mul_f32_e32 v122, 0xbf68dda4, v87
	v_add_f32_e32 v29, v86, v29
	v_add_f32_e32 v28, v86, v28
	;; [unrolled: 1-line block ×10, first 2 shown]
	v_sub_f32_e32 v86, v163, v167
	v_fma_f32 v123, v22, s4, -v122
	v_add_f32_e32 v23, v164, v168
	v_add_f32_e32 v29, v123, v29
	v_mul_f32_e32 v123, 0xbf68dda4, v86
	v_fmac_f32_e32 v122, 0x3ed4b147, v22
	v_add_f32_e32 v28, v122, v28
	v_fma_f32 v122, v23, s4, -v123
	v_add_f32_e32 v30, v122, v30
	v_mul_f32_e32 v122, 0xbf4178ce, v87
	v_mov_b32_e32 v124, v123
	v_fma_f32 v123, v22, s7, -v122
	v_add_f32_e32 v91, v123, v91
	v_mul_f32_e32 v123, 0xbf4178ce, v86
	v_fmac_f32_e32 v122, 0xbf27a4f4, v22
	v_add_f32_e32 v90, v122, v90
	v_fma_f32 v122, v23, s7, -v123
	v_fmac_f32_e32 v124, 0x3ed4b147, v23
	v_add_f32_e32 v92, v122, v92
	v_mul_f32_e32 v122, 0x3e903f40, v87
	v_add_f32_e32 v31, v124, v31
	v_mov_b32_e32 v124, v123
	v_fma_f32 v123, v22, s16, -v122
	v_add_f32_e32 v105, v123, v105
	v_mul_f32_e32 v123, 0x3e903f40, v86
	v_fmac_f32_e32 v122, 0xbf75a155, v22
	v_add_f32_e32 v104, v122, v104
	v_fma_f32 v122, v23, s16, -v123
	v_fmac_f32_e32 v124, 0xbf27a4f4, v23
	v_add_f32_e32 v108, v122, v108
	v_mul_f32_e32 v122, 0x3f7d64f0, v87
	v_add_f32_e32 v93, v124, v93
	v_mov_b32_e32 v124, v123
	v_fma_f32 v123, v22, s5, -v122
	v_add_f32_e32 v111, v123, v111
	v_mul_f32_e32 v123, 0x3f7d64f0, v86
	v_fmac_f32_e32 v122, 0xbe11bafb, v22
	v_add_f32_e32 v110, v122, v110
	v_fma_f32 v122, v23, s5, -v123
	v_mul_f32_e32 v87, 0x3f0a6770, v87
	v_add_f32_e32 v112, v122, v112
	v_fma_f32 v122, v22, s6, -v87
	v_mul_f32_e32 v86, 0x3f0a6770, v86
	v_fmac_f32_e32 v87, 0x3f575c64, v22
	v_add_f32_e32 v114, v122, v114
	v_mov_b32_e32 v122, v86
	v_add_f32_e32 v21, v87, v21
	v_fma_f32 v22, v23, s6, -v86
	v_sub_f32_e32 v87, v161, v162
	v_fmac_f32_e32 v124, 0xbf75a155, v23
	v_fmac_f32_e32 v122, 0x3f575c64, v23
	v_add_f32_e32 v20, v22, v20
	v_add_f32_e32 v22, v160, v121
	v_sub_f32_e32 v86, v160, v121
	v_mul_f32_e32 v121, 0xbf7d64f0, v87
	v_add_f32_e32 v109, v124, v109
	v_mov_b32_e32 v124, v123
	v_add_f32_e32 v115, v122, v115
	v_fma_f32 v122, v22, s5, -v121
	v_fmac_f32_e32 v124, 0xbe11bafb, v23
	v_add_f32_e32 v23, v161, v162
	v_add_f32_e32 v29, v122, v29
	v_mul_f32_e32 v122, 0xbf7d64f0, v86
	v_fmac_f32_e32 v121, 0xbe11bafb, v22
	v_add_f32_e32 v28, v121, v28
	v_fma_f32 v121, v23, s5, -v122
	v_add_f32_e32 v30, v121, v30
	v_mul_f32_e32 v121, 0x3e903f40, v87
	v_mov_b32_e32 v123, v122
	v_fma_f32 v122, v22, s16, -v121
	v_add_f32_e32 v91, v122, v91
	v_mul_f32_e32 v122, 0x3e903f40, v86
	v_fmac_f32_e32 v121, 0xbf75a155, v22
	v_add_f32_e32 v90, v121, v90
	v_fma_f32 v121, v23, s16, -v122
	v_fmac_f32_e32 v123, 0xbe11bafb, v23
	v_add_f32_e32 v92, v121, v92
	v_mul_f32_e32 v121, 0x3f68dda4, v87
	v_add_f32_e32 v31, v123, v31
	v_mov_b32_e32 v123, v122
	v_fma_f32 v122, v22, s4, -v121
	v_add_f32_e32 v105, v122, v105
	v_mul_f32_e32 v122, 0x3f68dda4, v86
	v_fmac_f32_e32 v121, 0x3ed4b147, v22
	v_add_f32_e32 v104, v121, v104
	v_fma_f32 v121, v23, s4, -v122
	v_fmac_f32_e32 v123, 0xbf75a155, v23
	v_add_f32_e32 v108, v121, v108
	v_mul_f32_e32 v121, 0xbf0a6770, v87
	v_add_f32_e32 v93, v123, v93
	v_mov_b32_e32 v123, v122
	v_fma_f32 v122, v22, s6, -v121
	v_add_f32_e32 v111, v122, v111
	v_mul_f32_e32 v122, 0xbf0a6770, v86
	v_fmac_f32_e32 v121, 0x3f575c64, v22
	v_add_f32_e32 v110, v121, v110
	v_fma_f32 v121, v23, s6, -v122
	v_mul_f32_e32 v87, 0xbf4178ce, v87
	v_fmac_f32_e32 v123, 0x3ed4b147, v23
	v_add_f32_e32 v112, v121, v112
	v_fma_f32 v121, v22, s7, -v87
	v_mul_f32_e32 v86, 0xbf4178ce, v86
	v_fmac_f32_e32 v87, 0xbf27a4f4, v22
	v_add_f32_e32 v109, v123, v109
	v_mov_b32_e32 v123, v122
	v_add_f32_e32 v114, v121, v114
	v_mov_b32_e32 v121, v86
	v_add_f32_e32 v21, v87, v21
	v_fma_f32 v22, v23, s7, -v86
	v_sub_f32_e32 v87, v158, v120
	v_fmac_f32_e32 v123, 0x3f575c64, v23
	v_fmac_f32_e32 v121, 0xbf27a4f4, v23
	v_add_f32_e32 v20, v22, v20
	v_add_f32_e32 v22, v157, v159
	;; [unrolled: 1-line block ×3, first 2 shown]
	v_mul_f32_e32 v120, 0xbf4178ce, v87
	v_add_f32_e32 v115, v121, v115
	v_sub_f32_e32 v86, v157, v159
	v_fma_f32 v121, v22, s7, -v120
	v_add_f32_e32 v29, v121, v29
	v_mul_f32_e32 v121, 0xbf4178ce, v86
	v_fmac_f32_e32 v120, 0xbf27a4f4, v22
	v_add_f32_e32 v28, v120, v28
	v_fma_f32 v120, v23, s7, -v121
	v_add_f32_e32 v30, v120, v30
	v_mul_f32_e32 v120, 0x3f7d64f0, v87
	v_mov_b32_e32 v122, v121
	v_fma_f32 v121, v22, s5, -v120
	v_fmac_f32_e32 v122, 0xbf27a4f4, v23
	v_add_f32_e32 v91, v121, v91
	v_mul_f32_e32 v121, 0x3f7d64f0, v86
	v_add_f32_e32 v31, v122, v31
	v_mov_b32_e32 v122, v121
	v_fmac_f32_e32 v122, 0xbe11bafb, v23
	v_add_f32_e32 v122, v122, v93
	v_fmac_f32_e32 v120, 0xbe11bafb, v22
	v_fma_f32 v93, v23, s5, -v121
	v_add_f32_e32 v90, v120, v90
	v_add_f32_e32 v120, v93, v92
	v_mul_f32_e32 v92, 0xbf0a6770, v87
	v_fma_f32 v93, v22, s6, -v92
	v_add_f32_e32 v105, v93, v105
	v_mul_f32_e32 v93, 0xbf0a6770, v86
	v_fmac_f32_e32 v92, 0x3f575c64, v22
	v_add_f32_e32 v104, v92, v104
	v_fma_f32 v92, v23, s6, -v93
	v_add_f32_e32 v108, v92, v108
	v_mul_f32_e32 v92, 0xbe903f40, v87
	v_mov_b32_e32 v121, v93
	v_fma_f32 v93, v22, s16, -v92
	v_fmac_f32_e32 v121, 0x3f575c64, v23
	v_add_f32_e32 v111, v93, v111
	v_mul_f32_e32 v93, 0xbe903f40, v86
	v_add_f32_e32 v113, v124, v113
	v_add_f32_e32 v109, v121, v109
	v_mov_b32_e32 v121, v93
	v_fmac_f32_e32 v92, 0xbf75a155, v22
	v_add_f32_e32 v113, v123, v113
	v_fmac_f32_e32 v121, 0xbf75a155, v23
	v_add_f32_e32 v110, v92, v110
	v_fma_f32 v92, v23, s16, -v93
	v_mul_f32_e32 v87, 0x3f68dda4, v87
	v_mul_f32_e32 v86, 0x3f68dda4, v86
	v_add_f32_e32 v113, v121, v113
	v_add_f32_e32 v121, v92, v112
	v_fma_f32 v92, v22, s4, -v87
	v_fmac_f32_e32 v87, 0x3ed4b147, v22
	v_fma_f32 v22, v23, s4, -v86
	v_sub_f32_e32 v157, v95, v107
	v_add_f32_e32 v123, v92, v114
	v_mov_b32_e32 v92, v86
	v_add_f32_e32 v20, v22, v20
	v_add_f32_e32 v22, v94, v106
	v_mul_f32_e32 v86, 0xbe903f40, v157
	v_fmac_f32_e32 v92, 0x3ed4b147, v23
	v_add_f32_e32 v21, v87, v21
	v_sub_f32_e32 v125, v94, v106
	v_fma_f32 v87, v22, s16, -v86
	v_add_f32_e32 v124, v92, v115
	v_add_f32_e32 v92, v87, v29
	v_mul_f32_e32 v29, 0xbe903f40, v125
	v_add_f32_e32 v23, v95, v107
	v_mov_b32_e32 v87, v29
	v_fmac_f32_e32 v86, 0xbf75a155, v22
	v_fmac_f32_e32 v87, 0xbf75a155, v23
	v_add_f32_e32 v86, v86, v28
	v_fma_f32 v28, v23, s16, -v29
	v_add_f32_e32 v93, v87, v31
	v_add_f32_e32 v87, v28, v30
	v_mul_f32_e32 v28, 0x3f0a6770, v157
	v_fma_f32 v29, v22, s6, -v28
	v_add_f32_e32 v94, v29, v91
	v_mul_f32_e32 v29, 0x3f0a6770, v125
	v_fmac_f32_e32 v28, 0x3f575c64, v22
	v_add_f32_e32 v90, v28, v90
	v_fma_f32 v28, v23, s6, -v29
	v_add_f32_e32 v91, v28, v120
	v_mul_f32_e32 v28, 0xbf4178ce, v157
	v_mov_b32_e32 v30, v29
	v_fma_f32 v29, v22, s7, -v28
	v_add_f32_e32 v106, v29, v105
	v_mul_f32_e32 v29, 0xbf4178ce, v125
	v_fmac_f32_e32 v28, 0xbf27a4f4, v22
	v_add_f32_e32 v104, v28, v104
	v_fma_f32 v28, v23, s7, -v29
	v_fmac_f32_e32 v30, 0x3f575c64, v23
	v_add_f32_e32 v105, v28, v108
	v_mul_f32_e32 v28, 0x3f68dda4, v157
	v_add_f32_e32 v95, v30, v122
	v_mov_b32_e32 v30, v29
	v_fma_f32 v29, v22, s4, -v28
	v_add_f32_e32 v112, v29, v111
	v_mul_f32_e32 v29, 0x3f68dda4, v125
	v_fmac_f32_e32 v28, 0x3ed4b147, v22
	v_add_f32_e32 v114, v28, v110
	v_fma_f32 v28, v23, s4, -v29
	v_fmac_f32_e32 v30, 0xbf27a4f4, v23
	v_add_f32_e32 v115, v28, v121
	v_mul_f32_e32 v28, 0xbf7d64f0, v157
	v_add_f32_e32 v107, v30, v109
	v_mov_b32_e32 v30, v29
	v_fma_f32 v29, v22, s5, -v28
	v_add_f32_e32 v120, v29, v123
	v_mul_f32_e32 v29, 0xbf7d64f0, v125
	v_fmac_f32_e32 v28, 0xbe11bafb, v22
	v_add_f32_e32 v122, v28, v21
	v_fma_f32 v21, v23, s5, -v29
	v_add_f32_e32 v123, v21, v20
	v_add_f32_e32 v21, v81, v155
	;; [unrolled: 1-line block ×11, first 2 shown]
	v_fmac_f32_e32 v30, 0x3ed4b147, v23
	v_add_f32_e32 v20, v20, v98
	v_add_f32_e32 v21, v21, v117
	;; [unrolled: 1-line block ×3, first 2 shown]
	v_mov_b32_e32 v30, v29
	v_add_f32_e32 v20, v20, v100
	v_add_f32_e32 v21, v21, v147
	v_fmac_f32_e32 v30, 0xbe11bafb, v23
	v_add_f32_e32 v20, v20, v116
	v_add_f32_e32 v21, v21, v118
	v_sub_f32_e32 v22, v151, v119
	v_add_f32_e32 v121, v30, v124
	v_add_f32_e32 v20, v20, v146
	;; [unrolled: 1-line block ×4, first 2 shown]
	v_sub_f32_e32 v23, v155, v156
	v_mul_f32_e32 v30, 0xbf0a6770, v22
	v_mul_f32_e32 v110, 0xbf68dda4, v22
	v_mul_f32_e32 v155, 0xbf7d64f0, v22
	v_mul_f32_e32 v159, 0xbf4178ce, v22
	v_mul_f32_e32 v22, 0xbe903f40, v22
	v_add_f32_e32 v20, v20, v150
	v_mov_b32_e32 v31, v30
	v_mov_b32_e32 v111, v110
	;; [unrolled: 1-line block ×5, first 2 shown]
	v_add_f32_e32 v124, v20, v119
	v_add_f32_e32 v20, v151, v119
	v_mul_f32_e32 v28, 0xbf0a6770, v23
	v_fmac_f32_e32 v31, 0x3f575c64, v21
	v_fma_f32 v30, v21, s6, -v30
	v_mul_f32_e32 v108, 0xbf68dda4, v23
	v_fmac_f32_e32 v111, 0x3ed4b147, v21
	v_fma_f32 v110, v21, s4, -v110
	;; [unrolled: 3-line block ×5, first 2 shown]
	v_add_f32_e32 v31, v81, v31
	v_add_f32_e32 v30, v81, v30
	;; [unrolled: 1-line block ×8, first 2 shown]
	v_fma_f32 v161, v20, s16, -v23
	v_add_f32_e32 v162, v81, v162
	v_fmac_f32_e32 v23, 0xbf75a155, v20
	v_add_f32_e32 v21, v81, v21
	v_sub_f32_e32 v81, v149, v118
	v_fma_f32 v29, v20, s6, -v28
	v_fmac_f32_e32 v28, 0x3f575c64, v20
	v_fma_f32 v109, v20, s4, -v108
	v_fmac_f32_e32 v108, 0x3ed4b147, v20
	v_fma_f32 v151, v20, s5, -v119
	v_fmac_f32_e32 v119, 0xbe11bafb, v20
	v_fma_f32 v158, v20, s7, -v157
	v_fmac_f32_e32 v157, 0xbf27a4f4, v20
	v_add_f32_e32 v20, v80, v23
	v_add_f32_e32 v22, v148, v150
	;; [unrolled: 1-line block ×3, first 2 shown]
	v_mul_f32_e32 v118, 0xbf68dda4, v81
	v_add_f32_e32 v29, v80, v29
	v_add_f32_e32 v28, v80, v28
	;; [unrolled: 1-line block ×9, first 2 shown]
	v_sub_f32_e32 v80, v148, v150
	v_fma_f32 v148, v22, s4, -v118
	v_add_f32_e32 v29, v148, v29
	v_mul_f32_e32 v148, 0xbf68dda4, v80
	v_fmac_f32_e32 v118, 0x3ed4b147, v22
	v_add_f32_e32 v28, v118, v28
	v_fma_f32 v118, v23, s4, -v148
	v_add_f32_e32 v30, v118, v30
	v_mul_f32_e32 v118, 0xbf4178ce, v81
	v_mov_b32_e32 v149, v148
	v_fma_f32 v148, v22, s7, -v118
	v_fmac_f32_e32 v149, 0x3ed4b147, v23
	v_add_f32_e32 v109, v148, v109
	v_mul_f32_e32 v148, 0xbf4178ce, v80
	v_fmac_f32_e32 v118, 0xbf27a4f4, v22
	v_add_f32_e32 v31, v149, v31
	v_mov_b32_e32 v149, v148
	v_add_f32_e32 v108, v118, v108
	v_fma_f32 v118, v23, s7, -v148
	v_fmac_f32_e32 v149, 0xbf27a4f4, v23
	v_add_f32_e32 v110, v118, v110
	v_mul_f32_e32 v118, 0x3e903f40, v81
	v_add_f32_e32 v111, v149, v111
	v_fma_f32 v148, v22, s16, -v118
	v_mul_f32_e32 v149, 0x3e903f40, v80
	v_fmac_f32_e32 v118, 0xbf75a155, v22
	v_mov_b32_e32 v150, v149
	v_add_f32_e32 v118, v118, v119
	v_fma_f32 v119, v23, s16, -v149
	v_mul_f32_e32 v149, 0x3f7d64f0, v81
	v_add_f32_e32 v148, v148, v151
	v_fma_f32 v151, v22, s5, -v149
	v_fmac_f32_e32 v149, 0xbe11bafb, v22
	v_mul_f32_e32 v81, 0x3f0a6770, v81
	v_add_f32_e32 v119, v119, v155
	v_mul_f32_e32 v155, 0x3f7d64f0, v80
	v_add_f32_e32 v149, v149, v157
	v_fma_f32 v157, v22, s6, -v81
	v_mul_f32_e32 v80, 0x3f0a6770, v80
	v_fmac_f32_e32 v81, 0x3f575c64, v22
	v_fmac_f32_e32 v150, 0xbf75a155, v23
	v_add_f32_e32 v20, v81, v20
	v_fma_f32 v22, v23, s6, -v80
	v_sub_f32_e32 v81, v145, v147
	v_add_f32_e32 v150, v150, v156
	v_add_f32_e32 v151, v151, v158
	v_mov_b32_e32 v156, v155
	v_mov_b32_e32 v158, v80
	v_add_f32_e32 v21, v22, v21
	v_add_f32_e32 v22, v144, v146
	v_sub_f32_e32 v80, v144, v146
	v_mul_f32_e32 v144, 0xbf7d64f0, v81
	v_fmac_f32_e32 v156, 0xbe11bafb, v23
	v_fma_f32 v155, v23, s5, -v155
	v_fmac_f32_e32 v158, 0x3f575c64, v23
	v_add_f32_e32 v23, v145, v147
	v_fma_f32 v145, v22, s5, -v144
	v_add_f32_e32 v29, v145, v29
	v_mul_f32_e32 v145, 0xbf7d64f0, v80
	v_fmac_f32_e32 v144, 0xbe11bafb, v22
	v_add_f32_e32 v28, v144, v28
	v_fma_f32 v144, v23, s5, -v145
	v_add_f32_e32 v30, v144, v30
	v_mul_f32_e32 v144, 0x3e903f40, v81
	v_mov_b32_e32 v146, v145
	v_fma_f32 v145, v22, s16, -v144
	v_fmac_f32_e32 v146, 0xbe11bafb, v23
	v_add_f32_e32 v109, v145, v109
	v_mul_f32_e32 v145, 0x3e903f40, v80
	v_fmac_f32_e32 v144, 0xbf75a155, v22
	v_add_f32_e32 v31, v146, v31
	v_mov_b32_e32 v146, v145
	v_add_f32_e32 v108, v144, v108
	v_fma_f32 v144, v23, s16, -v145
	v_fmac_f32_e32 v146, 0xbf75a155, v23
	v_add_f32_e32 v110, v144, v110
	v_mul_f32_e32 v144, 0x3f68dda4, v81
	v_add_f32_e32 v111, v146, v111
	v_fma_f32 v145, v22, s4, -v144
	v_mul_f32_e32 v146, 0x3f68dda4, v80
	v_fmac_f32_e32 v144, 0x3ed4b147, v22
	v_add_f32_e32 v118, v144, v118
	v_fma_f32 v144, v23, s4, -v146
	v_add_f32_e32 v119, v144, v119
	v_mul_f32_e32 v144, 0xbf0a6770, v81
	v_mov_b32_e32 v147, v146
	v_fma_f32 v146, v22, s6, -v144
	v_fmac_f32_e32 v144, 0x3f575c64, v22
	v_mul_f32_e32 v81, 0xbf4178ce, v81
	v_add_f32_e32 v145, v145, v148
	v_mul_f32_e32 v148, 0xbf0a6770, v80
	v_add_f32_e32 v144, v144, v149
	v_fma_f32 v149, v22, s7, -v81
	v_mul_f32_e32 v80, 0xbf4178ce, v80
	v_fmac_f32_e32 v81, 0xbf27a4f4, v22
	v_fmac_f32_e32 v147, 0x3ed4b147, v23
	v_add_f32_e32 v20, v81, v20
	v_fma_f32 v22, v23, s7, -v80
	v_sub_f32_e32 v81, v103, v117
	v_add_f32_e32 v147, v147, v150
	v_add_f32_e32 v146, v146, v151
	v_mov_b32_e32 v150, v148
	v_mov_b32_e32 v151, v80
	v_add_f32_e32 v21, v22, v21
	v_add_f32_e32 v22, v102, v116
	v_sub_f32_e32 v80, v102, v116
	v_mul_f32_e32 v102, 0xbf4178ce, v81
	v_fmac_f32_e32 v150, 0x3f575c64, v23
	v_fma_f32 v148, v23, s6, -v148
	v_fmac_f32_e32 v151, 0xbf27a4f4, v23
	v_add_f32_e32 v23, v103, v117
	v_fma_f32 v103, v22, s7, -v102
	v_add_f32_e32 v29, v103, v29
	v_mul_f32_e32 v103, 0xbf4178ce, v80
	v_fmac_f32_e32 v102, 0xbf27a4f4, v22
	v_add_f32_e32 v28, v102, v28
	v_fma_f32 v102, v23, s7, -v103
	v_add_f32_e32 v30, v102, v30
	v_mul_f32_e32 v102, 0x3f7d64f0, v81
	v_mov_b32_e32 v116, v103
	v_fma_f32 v103, v22, s5, -v102
	v_fmac_f32_e32 v116, 0xbf27a4f4, v23
	v_add_f32_e32 v103, v103, v109
	v_mul_f32_e32 v109, 0x3f7d64f0, v80
	v_add_f32_e32 v31, v116, v31
	v_mov_b32_e32 v116, v109
	v_fmac_f32_e32 v102, 0xbe11bafb, v22
	v_fmac_f32_e32 v116, 0xbe11bafb, v23
	v_add_f32_e32 v102, v102, v108
	v_fma_f32 v108, v23, s5, -v109
	v_mul_f32_e32 v109, 0xbf0a6770, v81
	v_add_f32_e32 v111, v116, v111
	v_add_f32_e32 v108, v108, v110
	v_fma_f32 v110, v22, s6, -v109
	v_mul_f32_e32 v116, 0xbf0a6770, v80
	v_fmac_f32_e32 v109, 0x3f575c64, v22
	v_mov_b32_e32 v117, v116
	v_add_f32_e32 v109, v109, v118
	v_fma_f32 v116, v23, s6, -v116
	v_mul_f32_e32 v118, 0xbe903f40, v81
	v_add_f32_e32 v158, v158, v162
	v_add_f32_e32 v110, v110, v145
	v_fmac_f32_e32 v117, 0x3f575c64, v23
	v_add_f32_e32 v116, v116, v119
	v_fma_f32 v119, v22, s16, -v118
	v_mul_f32_e32 v145, 0xbe903f40, v80
	v_fmac_f32_e32 v118, 0xbf75a155, v22
	v_mul_f32_e32 v81, 0x3f68dda4, v81
	v_mul_f32_e32 v80, 0x3f68dda4, v80
	v_add_f32_e32 v162, v99, v101
	v_sub_f32_e32 v99, v99, v101
	v_add_f32_e32 v155, v155, v159
	v_add_f32_e32 v157, v157, v161
	;; [unrolled: 1-line block ×4, first 2 shown]
	v_mov_b32_e32 v146, v145
	v_add_f32_e32 v118, v118, v144
	v_fma_f32 v144, v23, s16, -v145
	v_fma_f32 v145, v22, s4, -v81
	v_mov_b32_e32 v147, v80
	v_fmac_f32_e32 v81, 0x3ed4b147, v22
	v_add_f32_e32 v161, v98, v100
	v_sub_f32_e32 v98, v98, v100
	v_mul_f32_e32 v100, 0xbf4178ce, v99
	v_add_f32_e32 v156, v156, v160
	v_add_f32_e32 v148, v148, v155
	v_fmac_f32_e32 v146, 0xbf75a155, v23
	v_fmac_f32_e32 v147, 0x3ed4b147, v23
	v_add_f32_e32 v81, v81, v20
	v_fma_f32 v20, v23, s4, -v80
	v_mul_f32_e32 v23, 0xbe903f40, v98
	v_fma_f32 v101, v161, s7, -v100
	v_add_f32_e32 v150, v150, v156
	v_add_f32_e32 v144, v144, v148
	;; [unrolled: 1-line block ×3, first 2 shown]
	v_mul_f32_e32 v22, 0xbe903f40, v99
	v_mov_b32_e32 v21, v23
	v_fma_f32 v23, v162, s16, -v23
	v_add_f32_e32 v148, v101, v110
	v_mul_f32_e32 v101, 0xbf4178ce, v98
	v_fmac_f32_e32 v100, 0xbf27a4f4, v161
	v_add_f32_e32 v151, v151, v158
	v_add_f32_e32 v146, v146, v150
	v_fma_f32 v20, v161, s16, -v22
	v_fmac_f32_e32 v22, 0xbf75a155, v161
	v_add_f32_e32 v23, v23, v30
	v_mul_f32_e32 v30, 0x3f0a6770, v99
	v_add_f32_e32 v150, v100, v109
	v_fma_f32 v100, v162, s7, -v101
	v_add_f32_e32 v147, v147, v151
	v_add_f32_e32 v22, v22, v28
	v_fma_f32 v28, v161, s6, -v30
	v_fmac_f32_e32 v30, 0x3f575c64, v161
	v_add_f32_e32 v151, v100, v116
	v_mul_f32_e32 v100, 0x3f68dda4, v99
	v_add_f32_e32 v30, v30, v102
	v_mov_b32_e32 v102, v101
	v_fma_f32 v101, v161, s4, -v100
	v_add_f32_e32 v155, v101, v119
	v_mul_f32_e32 v101, 0x3f68dda4, v98
	v_fmac_f32_e32 v100, 0x3ed4b147, v161
	v_add_f32_e32 v149, v149, v157
	v_fmac_f32_e32 v21, 0xbf75a155, v162
	v_add_f32_e32 v157, v100, v118
	v_fma_f32 v100, v162, s4, -v101
	v_mul_f32_e32 v99, 0xbf7d64f0, v99
	v_add_f32_e32 v145, v145, v149
	v_add_f32_e32 v21, v21, v31
	v_mul_f32_e32 v31, 0x3f0a6770, v98
	v_fmac_f32_e32 v102, 0xbf27a4f4, v162
	v_add_f32_e32 v158, v100, v144
	v_fma_f32 v100, v161, s5, -v99
	v_mul_f32_e32 v98, 0xbf7d64f0, v98
	v_fmac_f32_e32 v99, 0xbe11bafb, v161
	v_add_f32_e32 v20, v20, v29
	v_mov_b32_e32 v29, v31
	v_add_f32_e32 v149, v102, v117
	v_mov_b32_e32 v102, v101
	;; [unrolled: 2-line block ×3, first 2 shown]
	v_add_f32_e32 v161, v99, v81
	v_fma_f32 v81, v162, s5, -v98
	v_sub_f32_e32 v101, v130, v143
	v_fmac_f32_e32 v29, 0x3f575c64, v162
	v_fma_f32 v31, v162, s6, -v31
	v_fmac_f32_e32 v102, 0x3ed4b147, v162
	v_fmac_f32_e32 v100, 0xbe11bafb, v162
	v_add_f32_e32 v162, v81, v80
	v_mul_f32_e32 v80, 0xbf0a6770, v101
	v_add_f32_e32 v156, v102, v146
	v_add_f32_e32 v160, v100, v147
	;; [unrolled: 1-line block ×3, first 2 shown]
	v_sub_f32_e32 v100, v96, v139
	v_mov_b32_e32 v102, v80
	v_add_f32_e32 v99, v130, v143
	v_mul_f32_e32 v81, 0xbf0a6770, v100
	v_fmac_f32_e32 v102, 0x3f575c64, v98
	v_add_f32_e32 v31, v31, v108
	v_add_f32_e32 v108, v4, v102
	v_fma_f32 v102, v99, s6, -v81
	v_add_f32_e32 v109, v5, v102
	v_mul_f32_e32 v102, 0xbf68dda4, v101
	v_add_f32_e32 v28, v28, v103
	v_fma_f32 v103, v98, s4, -v102
	v_add_f32_e32 v110, v4, v103
	v_mul_f32_e32 v103, 0xbf68dda4, v100
	v_fmac_f32_e32 v102, 0x3ed4b147, v98
	v_add_f32_e32 v116, v4, v102
	v_fma_f32 v102, v99, s4, -v103
	v_add_f32_e32 v117, v5, v102
	v_mul_f32_e32 v102, 0xbf7d64f0, v101
	v_add_f32_e32 v29, v29, v111
	v_mov_b32_e32 v111, v103
	v_fma_f32 v103, v98, s5, -v102
	v_add_f32_e32 v118, v4, v103
	v_mul_f32_e32 v103, 0xbf7d64f0, v100
	v_fmac_f32_e32 v102, 0xbe11bafb, v98
	v_add_f32_e32 v144, v4, v102
	v_fma_f32 v102, v99, s5, -v103
	v_add_f32_e32 v145, v5, v102
	v_mul_f32_e32 v102, 0xbf4178ce, v101
	v_mov_b32_e32 v119, v103
	v_fma_f32 v103, v98, s7, -v102
	v_add_f32_e32 v146, v4, v103
	v_mul_f32_e32 v103, 0xbf4178ce, v100
	v_fmac_f32_e32 v102, 0xbf27a4f4, v98
	v_add_f32_e32 v163, v4, v102
	v_fma_f32 v102, v99, s7, -v103
	v_mul_f32_e32 v101, 0xbe903f40, v101
	v_add_f32_e32 v164, v5, v102
	v_fma_f32 v102, v98, s16, -v101
	v_mul_f32_e32 v100, 0xbe903f40, v100
	v_add_f32_e32 v165, v4, v102
	v_mov_b32_e32 v102, v100
	v_fma_f32 v100, v99, s16, -v100
	v_sub_f32_e32 v170, v132, v142
	v_fmac_f32_e32 v102, 0xbf75a155, v99
	v_add_f32_e32 v168, v5, v100
	v_mul_f32_e32 v100, 0xbf68dda4, v170
	v_add_f32_e32 v166, v5, v102
	v_fmac_f32_e32 v101, 0xbf75a155, v98
	v_add_f32_e32 v102, v97, v137
	v_sub_f32_e32 v169, v97, v137
	v_mov_b32_e32 v171, v100
	v_mov_b32_e32 v147, v103
	v_add_f32_e32 v167, v4, v101
	v_add_f32_e32 v103, v132, v142
	v_mul_f32_e32 v101, 0xbf68dda4, v169
	v_fmac_f32_e32 v171, 0x3ed4b147, v102
	v_add_f32_e32 v171, v171, v108
	v_fma_f32 v108, v103, s4, -v101
	v_add_f32_e32 v172, v108, v109
	v_mul_f32_e32 v108, 0xbf4178ce, v170
	v_fma_f32 v109, v102, s7, -v108
	v_add_f32_e32 v173, v109, v110
	v_mul_f32_e32 v109, 0xbf4178ce, v169
	v_fmac_f32_e32 v108, 0xbf27a4f4, v102
	v_add_f32_e32 v116, v108, v116
	v_fma_f32 v108, v103, s7, -v109
	v_add_f32_e32 v117, v108, v117
	v_mul_f32_e32 v108, 0x3e903f40, v170
	v_mov_b32_e32 v110, v109
	v_fma_f32 v109, v102, s16, -v108
	v_add_f32_e32 v118, v109, v118
	v_mul_f32_e32 v109, 0x3e903f40, v169
	v_fmac_f32_e32 v108, 0xbf75a155, v102
	v_fmac_f32_e32 v111, 0x3ed4b147, v99
	v_add_f32_e32 v144, v108, v144
	v_fma_f32 v108, v103, s16, -v109
	v_add_f32_e32 v111, v5, v111
	v_fmac_f32_e32 v110, 0xbf27a4f4, v103
	v_add_f32_e32 v145, v108, v145
	v_mul_f32_e32 v108, 0x3f7d64f0, v170
	v_add_f32_e32 v174, v110, v111
	v_mov_b32_e32 v110, v109
	v_fma_f32 v109, v102, s5, -v108
	v_add_f32_e32 v146, v109, v146
	v_mul_f32_e32 v109, 0x3f7d64f0, v169
	v_fmac_f32_e32 v108, 0xbe11bafb, v102
	v_fmac_f32_e32 v119, 0xbe11bafb, v99
	v_add_f32_e32 v163, v108, v163
	v_fma_f32 v108, v103, s5, -v109
	v_add_f32_e32 v119, v5, v119
	v_fmac_f32_e32 v110, 0xbf75a155, v103
	v_add_f32_e32 v164, v108, v164
	v_mul_f32_e32 v108, 0x3f0a6770, v170
	v_fmac_f32_e32 v147, 0xbf27a4f4, v99
	v_add_f32_e32 v119, v110, v119
	v_mov_b32_e32 v110, v109
	v_fma_f32 v109, v102, s6, -v108
	v_add_f32_e32 v147, v5, v147
	v_fmac_f32_e32 v110, 0xbe11bafb, v103
	v_add_f32_e32 v165, v109, v165
	v_mul_f32_e32 v109, 0x3f0a6770, v169
	v_fmac_f32_e32 v108, 0x3f575c64, v102
	v_add_f32_e32 v147, v110, v147
	v_mov_b32_e32 v110, v109
	v_add_f32_e32 v167, v108, v167
	v_fma_f32 v108, v103, s6, -v109
	v_sub_f32_e32 v170, v133, v141
	v_fmac_f32_e32 v110, 0x3f575c64, v103
	v_add_f32_e32 v168, v108, v168
	v_mul_f32_e32 v108, 0xbf7d64f0, v170
	v_add_f32_e32 v166, v110, v166
	v_add_f32_e32 v110, v128, v135
	v_sub_f32_e32 v169, v128, v135
	v_mov_b32_e32 v175, v108
	v_add_f32_e32 v111, v133, v141
	v_mul_f32_e32 v109, 0xbf7d64f0, v169
	v_fmac_f32_e32 v175, 0xbe11bafb, v110
	v_add_f32_e32 v171, v175, v171
	v_fma_f32 v175, v111, s5, -v109
	v_add_f32_e32 v172, v175, v172
	v_mul_f32_e32 v175, 0x3e903f40, v170
	v_fma_f32 v176, v110, s16, -v175
	v_add_f32_e32 v173, v176, v173
	v_mul_f32_e32 v176, 0x3e903f40, v169
	v_fmac_f32_e32 v175, 0xbf75a155, v110
	v_add_f32_e32 v175, v175, v116
	v_fma_f32 v116, v111, s16, -v176
	v_mov_b32_e32 v177, v176
	v_add_f32_e32 v176, v116, v117
	v_mul_f32_e32 v116, 0x3f68dda4, v170
	v_fmac_f32_e32 v177, 0xbf75a155, v111
	v_fma_f32 v117, v110, s4, -v116
	v_add_f32_e32 v174, v177, v174
	v_add_f32_e32 v177, v117, v118
	v_mul_f32_e32 v117, 0x3f68dda4, v169
	v_fmac_f32_e32 v116, 0x3ed4b147, v110
	v_add_f32_e32 v144, v116, v144
	v_fma_f32 v116, v111, s4, -v117
	v_add_f32_e32 v145, v116, v145
	v_mul_f32_e32 v116, 0xbf0a6770, v170
	v_mov_b32_e32 v118, v117
	v_fma_f32 v117, v110, s6, -v116
	v_add_f32_e32 v146, v117, v146
	v_mul_f32_e32 v117, 0xbf0a6770, v169
	v_fmac_f32_e32 v116, 0x3f575c64, v110
	v_add_f32_e32 v163, v116, v163
	v_fma_f32 v116, v111, s6, -v117
	v_fmac_f32_e32 v118, 0x3ed4b147, v111
	v_add_f32_e32 v164, v116, v164
	v_mul_f32_e32 v116, 0xbf4178ce, v170
	v_add_f32_e32 v178, v118, v119
	v_mov_b32_e32 v118, v117
	v_fma_f32 v117, v110, s7, -v116
	v_fmac_f32_e32 v118, 0x3f575c64, v111
	v_add_f32_e32 v165, v117, v165
	v_mul_f32_e32 v117, 0xbf4178ce, v169
	v_fmac_f32_e32 v116, 0xbf27a4f4, v110
	v_add_f32_e32 v147, v118, v147
	v_mov_b32_e32 v118, v117
	v_add_f32_e32 v167, v116, v167
	v_fma_f32 v116, v111, s7, -v117
	v_sub_f32_e32 v170, v134, v140
	v_fmac_f32_e32 v118, 0xbf27a4f4, v111
	v_add_f32_e32 v168, v116, v168
	v_mul_f32_e32 v116, 0xbf4178ce, v170
	v_add_f32_e32 v166, v118, v166
	v_add_f32_e32 v118, v129, v127
	v_sub_f32_e32 v169, v129, v127
	v_mov_b32_e32 v179, v116
	v_add_f32_e32 v119, v134, v140
	v_mul_f32_e32 v117, 0xbf4178ce, v169
	v_fmac_f32_e32 v179, 0xbf27a4f4, v118
	v_add_f32_e32 v171, v179, v171
	v_fma_f32 v179, v119, s7, -v117
	v_add_f32_e32 v172, v179, v172
	v_mul_f32_e32 v179, 0x3f7d64f0, v170
	v_fma_f32 v185, v118, s5, -v179
	v_add_f32_e32 v173, v185, v173
	v_mul_f32_e32 v185, 0x3f7d64f0, v169
	v_fmac_f32_e32 v179, 0xbe11bafb, v118
	v_add_f32_e32 v175, v179, v175
	v_fma_f32 v179, v119, s5, -v185
	v_add_f32_e32 v176, v179, v176
	v_mul_f32_e32 v179, 0xbf0a6770, v170
	v_mov_b32_e32 v186, v185
	v_fma_f32 v185, v118, s6, -v179
	v_add_f32_e32 v177, v185, v177
	v_mul_f32_e32 v185, 0xbf0a6770, v169
	v_fmac_f32_e32 v179, 0x3f575c64, v118
	v_fmac_f32_e32 v186, 0xbe11bafb, v119
	v_add_f32_e32 v179, v179, v144
	v_fma_f32 v144, v119, s6, -v185
	v_add_f32_e32 v174, v186, v174
	v_mov_b32_e32 v186, v185
	v_add_f32_e32 v185, v144, v145
	v_mul_f32_e32 v144, 0xbe903f40, v170
	v_fmac_f32_e32 v186, 0x3f575c64, v119
	v_fma_f32 v145, v118, s16, -v144
	v_add_f32_e32 v178, v186, v178
	v_add_f32_e32 v186, v145, v146
	v_mul_f32_e32 v145, 0xbe903f40, v169
	v_fmac_f32_e32 v144, 0xbf75a155, v118
	v_add_f32_e32 v163, v144, v163
	v_fma_f32 v144, v119, s16, -v145
	v_add_f32_e32 v164, v144, v164
	v_mul_f32_e32 v144, 0x3f68dda4, v170
	v_mov_b32_e32 v146, v145
	v_fma_f32 v145, v118, s4, -v144
	v_fmac_f32_e32 v146, 0xbf75a155, v119
	v_add_f32_e32 v165, v145, v165
	v_mul_f32_e32 v145, 0x3f68dda4, v169
	v_fmac_f32_e32 v144, 0x3ed4b147, v118
	v_add_f32_e32 v187, v146, v147
	v_mov_b32_e32 v146, v145
	v_add_f32_e32 v167, v144, v167
	v_fma_f32 v144, v119, s4, -v145
	v_sub_f32_e32 v170, v136, v138
	v_fmac_f32_e32 v146, 0x3ed4b147, v119
	v_add_f32_e32 v168, v144, v168
	v_mul_f32_e32 v144, 0xbe903f40, v170
	v_add_f32_e32 v166, v146, v166
	v_add_f32_e32 v146, v131, v126
	v_sub_f32_e32 v169, v131, v126
	v_mov_b32_e32 v188, v144
	v_add_f32_e32 v147, v136, v138
	v_mul_f32_e32 v145, 0xbe903f40, v169
	v_fmac_f32_e32 v188, 0xbf75a155, v146
	v_add_f32_e32 v190, v188, v171
	v_fma_f32 v171, v147, s16, -v145
	v_add_f32_e32 v191, v171, v172
	v_mul_f32_e32 v171, 0x3f0a6770, v170
	buffer_store_dword v190, off, s[20:23], 0 offset:64 ; 4-byte Folded Spill
	s_nop 0
	buffer_store_dword v191, off, s[20:23], 0 offset:68 ; 4-byte Folded Spill
	v_fma_f32 v172, v146, s6, -v171
	v_add_f32_e32 v190, v172, v173
	v_mul_f32_e32 v172, 0x3f0a6770, v169
	v_fmac_f32_e32 v171, 0x3f575c64, v146
	v_add_f32_e32 v175, v171, v175
	v_fma_f32 v171, v147, s6, -v172
	v_add_f32_e32 v176, v171, v176
	v_mul_f32_e32 v171, 0xbf4178ce, v170
	v_mov_b32_e32 v173, v172
	v_fma_f32 v172, v146, s7, -v171
	v_fmac_f32_e32 v173, 0x3f575c64, v147
	v_add_f32_e32 v192, v172, v177
	v_mul_f32_e32 v172, 0xbf4178ce, v169
	v_add_f32_e32 v191, v173, v174
	v_mov_b32_e32 v173, v172
	v_fmac_f32_e32 v173, 0xbf27a4f4, v147
	v_fmac_f32_e32 v171, 0xbf27a4f4, v146
	v_add_f32_e32 v193, v173, v178
	v_add_f32_e32 v173, v171, v179
	v_fma_f32 v171, v147, s7, -v172
	v_add_f32_e32 v174, v171, v185
	v_mul_f32_e32 v171, 0x3f68dda4, v170
	buffer_store_dword v190, off, s[20:23], 0 ; 4-byte Folded Spill
	s_nop 0
	buffer_store_dword v191, off, s[20:23], 0 offset:4 ; 4-byte Folded Spill
	buffer_store_dword v192, off, s[20:23], 0 offset:8 ; 4-byte Folded Spill
	;; [unrolled: 1-line block ×4, first 2 shown]
	s_nop 0
	buffer_store_dword v174, off, s[20:23], 0 offset:52 ; 4-byte Folded Spill
	buffer_store_dword v175, off, s[20:23], 0 offset:56 ; 4-byte Folded Spill
	;; [unrolled: 1-line block ×3, first 2 shown]
	v_fma_f32 v172, v146, s4, -v171
	v_add_f32_e32 v174, v172, v186
	v_mul_f32_e32 v172, 0x3f68dda4, v169
	v_fmac_f32_e32 v171, 0x3ed4b147, v146
	v_add_f32_e32 v171, v171, v163
	v_fma_f32 v163, v147, s4, -v172
	v_mov_b32_e32 v173, v172
	v_add_f32_e32 v172, v163, v164
	v_mul_f32_e32 v163, 0xbf7d64f0, v170
	v_fma_f32 v164, v146, s5, -v163
	v_add_f32_e32 v176, v164, v165
	v_mul_f32_e32 v164, 0xbf7d64f0, v169
	v_mov_b32_e32 v165, v164
	v_fmac_f32_e32 v163, 0xbe11bafb, v146
	v_fmac_f32_e32 v173, 0x3ed4b147, v147
	;; [unrolled: 1-line block ×3, first 2 shown]
	v_add_f32_e32 v169, v163, v167
	v_fma_f32 v163, v147, s5, -v164
	v_add_f32_e32 v175, v173, v187
	v_add_f32_e32 v177, v165, v166
	;; [unrolled: 1-line block ×3, first 2 shown]
	buffer_store_dword v174, off, s[20:23], 0 offset:16 ; 4-byte Folded Spill
	s_nop 0
	buffer_store_dword v175, off, s[20:23], 0 offset:20 ; 4-byte Folded Spill
	buffer_store_dword v176, off, s[20:23], 0 offset:24 ; 4-byte Folded Spill
	;; [unrolled: 1-line block ×4, first 2 shown]
	s_nop 0
	buffer_store_dword v170, off, s[20:23], 0 offset:36 ; 4-byte Folded Spill
	buffer_store_dword v171, off, s[20:23], 0 offset:40 ; 4-byte Folded Spill
	;; [unrolled: 1-line block ×3, first 2 shown]
	s_waitcnt lgkmcnt(0)
	; wave barrier
	ds_write2_b64 v24, v[0:1], v[8:9] offset1:7
	ds_write2_b64 v24, v[10:11], v[14:15] offset0:14 offset1:21
	ds_write2_b64 v24, v[16:17], v[82:83] offset0:28 offset1:35
	;; [unrolled: 1-line block ×4, first 2 shown]
	v_mul_u32_u24_e32 v0, 0x4d, v27
	v_add_lshl_u32 v0, v0, v152, 3
	buffer_store_dword v24, off, s[20:23], 0 offset:440 ; 4-byte Folded Spill
	ds_write_b64 v24, v[2:3] offset:560
	ds_write2_b64 v0, v[88:89], v[92:93] offset1:7
	ds_write2_b64 v0, v[94:95], v[106:107] offset0:14 offset1:21
	ds_write2_b64 v0, v[112:113], v[120:121] offset0:28 offset1:35
	;; [unrolled: 1-line block ×4, first 2 shown]
	buffer_store_dword v0, off, s[20:23], 0 offset:444 ; 4-byte Folded Spill
	ds_write_b64 v0, v[86:87] offset:560
	v_mul_u32_u24_e32 v0, 0x4d, v153
	v_add_lshl_u32 v0, v0, v154, 3
	ds_write2_b64 v0, v[124:125], v[20:21] offset1:7
	ds_write2_b64 v0, v[28:29], v[148:149] offset0:14 offset1:21
	ds_write2_b64 v0, v[155:156], v[159:160] offset0:28 offset1:35
	;; [unrolled: 1-line block ×4, first 2 shown]
	buffer_store_dword v0, off, s[20:23], 0 offset:448 ; 4-byte Folded Spill
	ds_write_b64 v0, v[22:23] offset:560
	s_and_saveexec_b64 s[4:5], s[0:1]
	s_cbranch_execz .LBB0_5
; %bb.4:
	v_mul_f32_e32 v0, 0x3f575c64, v98
	v_mul_f32_e32 v2, 0x3ed4b147, v102
	v_sub_f32_e32 v0, v0, v80
	v_mul_f32_e32 v6, 0xbe11bafb, v110
	v_add_f32_e32 v0, v4, v0
	v_sub_f32_e32 v2, v2, v100
	v_mul_f32_e32 v8, 0xbf27a4f4, v118
	v_add_f32_e32 v0, v2, v0
	;; [unrolled: 3-line block ×3, first 2 shown]
	v_sub_f32_e32 v2, v8, v116
	v_add_f32_e32 v0, v2, v0
	v_sub_f32_e32 v2, v10, v144
	v_add_f32_e32 v0, v2, v0
	v_add_f32_e32 v2, v5, v130
	;; [unrolled: 1-line block ×4, first 2 shown]
	v_mul_f32_e32 v1, 0x3f575c64, v99
	v_add_f32_e32 v2, v2, v134
	v_mul_f32_e32 v3, 0x3ed4b147, v103
	v_add_f32_e32 v1, v81, v1
	v_add_f32_e32 v2, v2, v136
	v_mul_f32_e32 v7, 0xbe11bafb, v111
	v_add_f32_e32 v1, v5, v1
	v_add_f32_e32 v3, v101, v3
	v_add_f32_e32 v2, v2, v138
	v_mul_f32_e32 v9, 0xbf27a4f4, v119
	v_add_f32_e32 v1, v3, v1
	v_add_f32_e32 v3, v109, v7
	v_add_f32_e32 v2, v2, v140
	v_mul_f32_e32 v11, 0xbf75a155, v147
	v_add_f32_e32 v1, v3, v1
	v_add_f32_e32 v3, v117, v9
	v_add_f32_e32 v2, v2, v141
	;; [unrolled: 1-line block ×8, first 2 shown]
	buffer_load_dword v4, off, s[20:23], 0 offset:364 ; 4-byte Folded Reload
	buffer_load_dword v5, off, s[20:23], 0 offset:368 ; 4-byte Folded Reload
	v_add_f32_e32 v2, v2, v97
	v_add_f32_e32 v2, v2, v128
	;; [unrolled: 1-line block ×9, first 2 shown]
	s_waitcnt vmcnt(1)
	v_mul_u32_u24_e32 v4, 0x4d, v4
	s_waitcnt vmcnt(0)
	v_add_lshl_u32 v4, v4, v5, 3
	ds_write2_b64 v4, v[2:3], v[0:1] offset1:7
	buffer_load_dword v0, off, s[20:23], 0  ; 4-byte Folded Reload
	buffer_load_dword v1, off, s[20:23], 0 offset:4 ; 4-byte Folded Reload
	buffer_load_dword v2, off, s[20:23], 0 offset:8 ; 4-byte Folded Reload
	buffer_load_dword v3, off, s[20:23], 0 offset:12 ; 4-byte Folded Reload
	s_waitcnt vmcnt(0)
	ds_write2_b64 v4, v[0:1], v[2:3] offset0:14 offset1:21
	buffer_load_dword v0, off, s[20:23], 0 offset:16 ; 4-byte Folded Reload
	buffer_load_dword v1, off, s[20:23], 0 offset:20 ; 4-byte Folded Reload
	buffer_load_dword v2, off, s[20:23], 0 offset:24 ; 4-byte Folded Reload
	buffer_load_dword v3, off, s[20:23], 0 offset:28 ; 4-byte Folded Reload
	s_waitcnt vmcnt(0)
	ds_write2_b64 v4, v[0:1], v[2:3] offset0:28 offset1:35
	buffer_load_dword v0, off, s[20:23], 0 offset:32 ; 4-byte Folded Reload
	;; [unrolled: 6-line block ×4, first 2 shown]
	buffer_load_dword v1, off, s[20:23], 0 offset:68 ; 4-byte Folded Reload
	s_waitcnt vmcnt(0)
	ds_write_b64 v4, v[0:1] offset:560
.LBB0_5:
	s_or_b64 exec, exec, s[4:5]
	s_movk_i32 s4, 0x14a
	v_add_co_u32_e32 v18, vcc, 0x113, v189
	v_add_co_u32_e32 v13, vcc, s4, v189
	v_lshlrev_b32_e32 v0, 3, v189
	v_add_co_u32_e32 v14, vcc, s12, v0
	v_mov_b32_e32 v0, s13
	v_addc_co_u32_e32 v15, vcc, 0, v0, vcc
	v_add_u32_e32 v17, 0x800, v26
	v_add_u32_e32 v96, 0x1800, v26
	;; [unrolled: 1-line block ×5, first 2 shown]
	s_waitcnt lgkmcnt(0)
	; wave barrier
	s_waitcnt lgkmcnt(0)
	ds_read2_b64 v[164:167], v26 offset1:55
	ds_read2_b64 v[152:155], v17 offset0:74 offset1:129
	ds_read2_b64 v[98:101], v96 offset0:2 offset1:57
	;; [unrolled: 1-line block ×10, first 2 shown]
	v_mov_b32_e32 v232, v0
	v_add_u32_e32 v0, 0x1c00, v26
	v_add_u32_e32 v229, 0x1000, v26
	;; [unrolled: 1-line block ×3, first 2 shown]
	ds_read2_b64 v[146:149], v0 offset0:94 offset1:149
	v_mov_b32_e32 v231, v0
	v_add_u32_e32 v0, 0x3400, v26
	v_lshlrev_b32_e32 v19, 5, v189
	ds_read2_b64 v[138:141], v229 offset0:38 offset1:93
	ds_read2_b64 v[134:137], v228 offset0:40 offset1:95
	;; [unrolled: 1-line block ×5, first 2 shown]
	ds_read_b64 v[2:3], v26 offset:14960
	global_load_dwordx4 v[80:83], v19, s[14:15] offset:576
	global_load_dwordx4 v[84:87], v19, s[14:15] offset:560
	v_mov_b32_e32 v230, v0
	s_movk_i32 s5, 0xffea
	v_mov_b32_e32 v223, v189
	v_mov_b32_e32 v16, v229
	s_movk_i32 s4, 0x3000
	s_waitcnt vmcnt(1) lgkmcnt(14)
	v_mul_f32_e32 v186, v170, v81
	s_waitcnt vmcnt(0)
	v_mul_f32_e32 v0, v155, v85
	v_fma_f32 v6, v154, v84, -v0
	v_mul_f32_e32 v0, v99, v87
	v_fma_f32 v8, v98, v86, -v0
	;; [unrolled: 2-line block ×3, first 2 shown]
	s_waitcnt lgkmcnt(13)
	v_mul_f32_e32 v0, v103, v83
	v_fma_f32 v194, v102, v82, -v0
	v_add_co_u32_e32 v0, vcc, s5, v189
	v_addc_co_u32_e64 v1, s[6:7], 0, -1, vcc
	v_cmp_gt_u16_e32 vcc, 22, v189
	v_cndmask_b32_e32 v1, v1, v183, vcc
	v_cndmask_b32_e32 v0, v0, v181, vcc
	v_lshlrev_b64 v[4:5], 5, v[0:1]
	v_mov_b32_e32 v1, s15
	v_add_co_u32_e32 v4, vcc, s14, v4
	v_addc_co_u32_e32 v5, vcc, v1, v5, vcc
	global_load_dwordx4 v[88:91], v[4:5], off offset:576
	global_load_dwordx4 v[92:95], v[4:5], off offset:560
	s_movk_i32 s5, 0xd5
	v_mul_f32_e32 v11, v154, v85
	v_fmac_f32_e32 v11, v155, v84
	v_mul_f32_e32 v12, v98, v87
	v_fmac_f32_e32 v186, v171, v80
	v_fmac_f32_e32 v12, v99, v86
	v_mul_f32_e32 v187, v102, v83
	v_fmac_f32_e32 v187, v103, v82
	v_sub_f32_e32 v7, v6, v8
	v_sub_f32_e32 v9, v194, v10
	v_add_f32_e32 v7, v7, v9
	v_sub_f32_e32 v20, v8, v6
	v_sub_f32_e32 v21, v10, v194
	v_add_f32_e32 v20, v20, v21
	v_sub_f32_e32 v21, v8, v10
	s_mov_b32 s6, 0x3f3bfb3b
	s_mov_b32 s7, 0x3eae86e6
	s_waitcnt vmcnt(1) lgkmcnt(11)
	v_mul_f32_e32 v198, v114, v89
	s_waitcnt vmcnt(0)
	v_mul_f32_e32 v4, v107, v93
	v_fma_f32 v206, v106, v92, -v4
	v_mul_f32_e32 v4, v101, v95
	v_fma_f32 v207, v100, v94, -v4
	;; [unrolled: 2-line block ×4, first 2 shown]
	v_mul_lo_u16_sdwa v4, v180, s5 dst_sel:DWORD dst_unused:UNUSED_PAD src0_sel:BYTE_0 src1_sel:DWORD
	v_lshrrev_b16_e32 v154, 14, v4
	v_mul_lo_u16_e32 v4, 0x4d, v154
	v_sub_u16_e32 v4, v180, v4
	v_and_b32_e32 v155, 0xff, v4
	v_mul_f32_e32 v191, v106, v93
	v_mul_f32_e32 v200, v104, v91
	v_lshlrev_b32_e32 v4, 5, v155
	v_fmac_f32_e32 v191, v107, v92
	v_fmac_f32_e32 v198, v115, v88
	;; [unrolled: 1-line block ×3, first 2 shown]
	global_load_dwordx4 v[104:107], v4, s[14:15] offset:576
	global_load_dwordx4 v[112:115], v4, s[14:15] offset:560
	v_mul_f32_e32 v196, v100, v95
	v_fmac_f32_e32 v196, v101, v94
	v_sub_f32_e32 v23, v206, v207
	v_sub_f32_e32 v28, v212, v210
	v_add_f32_e32 v23, v23, v28
	v_sub_f32_e32 v29, v210, v212
	v_sub_f32_e32 v30, v206, v212
	;; [unrolled: 1-line block ×4, first 2 shown]
	s_waitcnt vmcnt(1) lgkmcnt(8)
	v_mul_f32_e32 v197, v130, v107
	s_waitcnt vmcnt(0)
	v_mul_f32_e32 v4, v109, v113
	v_fma_f32 v201, v108, v112, -v4
	v_mul_f32_e32 v4, v127, v115
	v_fma_f32 v202, v126, v114, -v4
	;; [unrolled: 2-line block ×4, first 2 shown]
	v_mul_lo_u16_sdwa v4, v182, s5 dst_sel:DWORD dst_unused:UNUSED_PAD src0_sel:BYTE_0 src1_sel:DWORD
	v_lshrrev_b16_e32 v4, 14, v4
	v_mul_lo_u16_e32 v4, 0x4d, v4
	v_sub_u16_e32 v170, v182, v4
	v_mov_b32_e32 v4, 5
	v_mul_f32_e32 v190, v126, v115
	v_lshlrev_b32_sdwa v4, v4, v170 dst_sel:DWORD dst_unused:UNUSED_PAD src0_sel:DWORD src1_sel:BYTE_0
	v_fmac_f32_e32 v190, v127, v114
	global_load_dwordx4 v[120:123], v4, s[14:15] offset:576
	global_load_dwordx4 v[124:127], v4, s[14:15] offset:560
	s_movk_i32 s5, 0x1a99
	v_fmac_f32_e32 v197, v131, v106
	v_mul_f32_e32 v188, v108, v113
	v_fmac_f32_e32 v188, v109, v112
	v_mul_f32_e32 v192, v116, v105
	v_sub_f32_e32 v116, v198, v200
	v_fmac_f32_e32 v192, v117, v104
	v_sub_f32_e32 v117, v201, v202
	v_sub_f32_e32 v119, v209, v204
	v_add_f32_e32 v117, v117, v119
	v_sub_f32_e32 v119, v204, v209
	s_waitcnt vmcnt(1) lgkmcnt(4)
	v_mul_f32_e32 v195, v134, v121
	s_waitcnt vmcnt(0)
	v_mul_f32_e32 v4, v139, v125
	v_fma_f32 v203, v138, v124, -v4
	v_mul_f32_e32 v4, v129, v127
	v_fma_f32 v205, v128, v126, -v4
	v_mul_f32_e32 v4, v135, v121
	v_fma_f32 v208, v134, v120, -v4
	v_mul_f32_e32 v4, v133, v123
	v_fma_f32 v211, v132, v122, -v4
	v_mul_u32_u24_sdwa v4, v184, s5 dst_sel:DWORD dst_unused:UNUSED_PAD src0_sel:WORD_0 src1_sel:DWORD
	v_lshrrev_b32_e32 v98, 19, v4
	v_mul_lo_u16_e32 v4, 0x4d, v98
	v_sub_u16_e32 v171, v184, v4
	v_lshlrev_b16_e32 v4, 5, v171
	v_add_co_u32_e32 v4, vcc, s14, v4
	v_mul_f32_e32 v193, v128, v127
	v_mul_f32_e32 v199, v132, v123
	v_addc_co_u32_e32 v5, vcc, 0, v1, vcc
	v_fmac_f32_e32 v193, v129, v126
	v_fmac_f32_e32 v195, v135, v120
	;; [unrolled: 1-line block ×3, first 2 shown]
	global_load_dwordx4 v[128:131], v[4:5], off offset:576
	global_load_dwordx4 v[132:135], v[4:5], off offset:560
	v_mul_f32_e32 v189, v138, v125
	v_fmac_f32_e32 v189, v139, v124
	s_waitcnt vmcnt(1)
	v_mul_f32_e32 v216, v136, v129
	s_waitcnt vmcnt(0)
	v_mul_f32_e32 v4, v141, v133
	v_fma_f32 v220, v140, v132, -v4
	v_mul_f32_e32 v4, v147, v135
	v_fma_f32 v222, v146, v134, -v4
	;; [unrolled: 2-line block ×3, first 2 shown]
	s_waitcnt lgkmcnt(3)
	v_mul_f32_e32 v4, v143, v131
	v_fma_f32 v25, v142, v130, -v4
	v_mul_u32_u24_sdwa v4, v18, s5 dst_sel:DWORD dst_unused:UNUSED_PAD src0_sel:WORD_0 src1_sel:DWORD
	v_lshrrev_b32_e32 v183, 19, v4
	v_mul_lo_u16_e32 v4, 0x4d, v183
	v_sub_u16_e32 v185, v18, v4
	v_lshlrev_b16_e32 v4, 5, v185
	v_add_co_u32_e32 v4, vcc, s14, v4
	v_mul_f32_e32 v213, v140, v133
	v_mul_f32_e32 v217, v142, v131
	v_addc_co_u32_e32 v5, vcc, 0, v1, vcc
	v_fmac_f32_e32 v213, v141, v132
	v_fmac_f32_e32 v216, v137, v128
	;; [unrolled: 1-line block ×3, first 2 shown]
	global_load_dwordx4 v[136:139], v[4:5], off offset:576
	global_load_dwordx4 v[140:143], v[4:5], off offset:560
	v_mul_f32_e32 v215, v146, v135
	v_fmac_f32_e32 v215, v147, v134
	s_waitcnt vmcnt(1) lgkmcnt(1)
	v_mul_f32_e32 v214, v172, v137
	s_waitcnt vmcnt(0)
	v_mul_f32_e32 v4, v177, v141
	v_fma_f32 v218, v176, v140, -v4
	v_mul_f32_e32 v4, v149, v143
	v_fma_f32 v219, v148, v142, -v4
	;; [unrolled: 2-line block ×4, first 2 shown]
	v_mul_u32_u24_sdwa v4, v13, s5 dst_sel:DWORD dst_unused:UNUSED_PAD src0_sel:WORD_0 src1_sel:DWORD
	v_lshrrev_b32_e32 v4, 19, v4
	v_mul_lo_u16_e32 v4, 0x4d, v4
	v_sub_u16_e32 v172, v13, v4
	v_lshlrev_b16_e32 v4, 5, v172
	v_mul_f32_e32 v176, v176, v141
	v_add_co_u32_e32 v4, vcc, s14, v4
	v_fmac_f32_e32 v176, v177, v140
	v_mul_f32_e32 v177, v148, v143
	v_fmac_f32_e32 v214, v173, v136
	v_mul_f32_e32 v173, v144, v139
	v_addc_co_u32_e32 v5, vcc, 0, v1, vcc
	v_fmac_f32_e32 v177, v149, v142
	v_fmac_f32_e32 v173, v145, v138
	global_load_dwordx4 v[144:147], v[4:5], off offset:576
	global_load_dwordx4 v[148:151], v[4:5], off offset:560
	v_sub_f32_e32 v4, v12, v186
	s_waitcnt lgkmcnt(0)
	; wave barrier
	s_waitcnt lgkmcnt(0)
	v_cmp_lt_u16_e32 vcc, 21, v223
	s_movk_i32 s5, 0x181
	s_waitcnt vmcnt(1)
	v_mul_f32_e32 v102, v2, v147
	s_waitcnt vmcnt(0)
	v_mul_f32_e32 v1, v179, v149
	v_fma_f32 v103, v178, v148, -v1
	v_mul_f32_e32 v1, v169, v151
	v_fma_f32 v108, v168, v150, -v1
	;; [unrolled: 2-line block ×4, first 2 shown]
	v_add_f32_e32 v1, v164, v6
	v_add_f32_e32 v1, v1, v8
	;; [unrolled: 1-line block ×3, first 2 shown]
	v_fmac_f32_e32 v102, v3, v146
	v_add_f32_e32 v3, v1, v194
	v_add_f32_e32 v1, v8, v10
	v_fma_f32 v1, -0.5, v1, v164
	v_sub_f32_e32 v2, v11, v187
	v_mov_b32_e32 v5, v1
	v_fmac_f32_e32 v5, 0x3f737871, v2
	v_fmac_f32_e32 v1, 0xbf737871, v2
	v_fmac_f32_e32 v5, 0x3f167918, v4
	v_fmac_f32_e32 v1, 0xbf167918, v4
	v_fmac_f32_e32 v5, 0x3e9e377a, v7
	v_fmac_f32_e32 v1, 0x3e9e377a, v7
	v_add_f32_e32 v7, v6, v194
	v_fma_f32 v7, -0.5, v7, v164
	v_mov_b32_e32 v9, v7
	v_fmac_f32_e32 v9, 0xbf737871, v4
	v_fmac_f32_e32 v7, 0x3f737871, v4
	;; [unrolled: 1-line block ×4, first 2 shown]
	v_add_f32_e32 v2, v165, v11
	v_add_f32_e32 v2, v2, v12
	;; [unrolled: 1-line block ×5, first 2 shown]
	v_fma_f32 v2, -0.5, v2, v165
	v_fmac_f32_e32 v9, 0x3e9e377a, v20
	v_fmac_f32_e32 v7, 0x3e9e377a, v20
	v_sub_f32_e32 v20, v6, v194
	v_mov_b32_e32 v6, v2
	v_fmac_f32_e32 v6, 0xbf737871, v20
	v_sub_f32_e32 v8, v11, v12
	v_sub_f32_e32 v10, v187, v186
	v_fmac_f32_e32 v2, 0x3f737871, v20
	v_fmac_f32_e32 v6, 0xbf167918, v21
	v_add_f32_e32 v8, v8, v10
	v_fmac_f32_e32 v2, 0x3f167918, v21
	v_fmac_f32_e32 v6, 0x3e9e377a, v8
	;; [unrolled: 1-line block ×3, first 2 shown]
	v_add_f32_e32 v8, v11, v187
	v_fma_f32 v8, -0.5, v8, v165
	v_mov_b32_e32 v10, v8
	v_fmac_f32_e32 v10, 0x3f737871, v21
	v_sub_f32_e32 v11, v12, v11
	v_sub_f32_e32 v12, v186, v187
	v_fmac_f32_e32 v8, 0xbf737871, v21
	v_fmac_f32_e32 v10, 0xbf167918, v20
	v_add_f32_e32 v11, v11, v12
	v_fmac_f32_e32 v8, 0x3f167918, v20
	v_fmac_f32_e32 v10, 0x3e9e377a, v11
	;; [unrolled: 1-line block ×3, first 2 shown]
	v_add_f32_e32 v11, v166, v206
	v_add_f32_e32 v11, v11, v207
	;; [unrolled: 1-line block ×5, first 2 shown]
	v_fma_f32 v11, -0.5, v11, v166
	v_sub_f32_e32 v12, v191, v200
	v_mov_b32_e32 v22, v11
	v_fmac_f32_e32 v22, 0x3f737871, v12
	v_sub_f32_e32 v21, v196, v198
	v_fmac_f32_e32 v11, 0xbf737871, v12
	v_fmac_f32_e32 v22, 0x3f167918, v21
	;; [unrolled: 1-line block ×5, first 2 shown]
	v_add_f32_e32 v23, v206, v212
	v_fma_f32 v166, -0.5, v23, v166
	v_mov_b32_e32 v28, v166
	v_fmac_f32_e32 v28, 0xbf737871, v21
	v_fmac_f32_e32 v166, 0x3f737871, v21
	v_fmac_f32_e32 v28, 0x3f167918, v12
	v_fmac_f32_e32 v166, 0xbf167918, v12
	v_add_f32_e32 v12, v167, v191
	v_add_f32_e32 v12, v12, v196
	;; [unrolled: 1-line block ×3, first 2 shown]
	v_sub_f32_e32 v23, v207, v206
	v_add_f32_e32 v21, v12, v200
	v_add_f32_e32 v12, v196, v198
	;; [unrolled: 1-line block ×3, first 2 shown]
	v_fma_f32 v12, -0.5, v12, v167
	v_fmac_f32_e32 v28, 0x3e9e377a, v23
	v_fmac_f32_e32 v166, 0x3e9e377a, v23
	v_mov_b32_e32 v23, v12
	v_fmac_f32_e32 v23, 0xbf737871, v30
	v_sub_f32_e32 v29, v191, v196
	v_fmac_f32_e32 v12, 0x3f737871, v30
	v_fmac_f32_e32 v23, 0xbf167918, v31
	v_add_f32_e32 v29, v29, v111
	v_fmac_f32_e32 v12, 0x3f167918, v31
	v_fmac_f32_e32 v23, 0x3e9e377a, v29
	v_fmac_f32_e32 v12, 0x3e9e377a, v29
	v_add_f32_e32 v29, v191, v200
	v_fmac_f32_e32 v167, -0.5, v29
	v_mov_b32_e32 v29, v167
	v_fmac_f32_e32 v29, 0x3f737871, v31
	v_sub_f32_e32 v111, v196, v191
	v_fmac_f32_e32 v167, 0xbf737871, v31
	v_add_f32_e32 v31, v202, v204
	v_add_f32_e32 v111, v111, v116
	v_fma_f32 v116, -0.5, v31, v160
	v_fmac_f32_e32 v29, 0xbf167918, v30
	v_fmac_f32_e32 v167, 0x3f167918, v30
	v_sub_f32_e32 v31, v188, v197
	v_mov_b32_e32 v118, v116
	v_fmac_f32_e32 v29, 0x3e9e377a, v111
	v_fmac_f32_e32 v167, 0x3e9e377a, v111
	;; [unrolled: 1-line block ×3, first 2 shown]
	v_sub_f32_e32 v111, v190, v192
	v_fmac_f32_e32 v116, 0xbf737871, v31
	v_fmac_f32_e32 v118, 0x3f167918, v111
	;; [unrolled: 1-line block ×5, first 2 shown]
	v_add_f32_e32 v117, v201, v209
	v_add_f32_e32 v30, v160, v201
	v_fma_f32 v160, -0.5, v117, v160
	v_mov_b32_e32 v164, v160
	v_fmac_f32_e32 v164, 0xbf737871, v111
	v_sub_f32_e32 v117, v202, v201
	v_fmac_f32_e32 v160, 0x3f737871, v111
	v_fmac_f32_e32 v164, 0x3f167918, v31
	v_add_f32_e32 v117, v117, v119
	v_fmac_f32_e32 v160, 0xbf167918, v31
	v_add_f32_e32 v111, v190, v192
	v_fmac_f32_e32 v164, 0x3e9e377a, v117
	v_fmac_f32_e32 v160, 0x3e9e377a, v117
	v_fma_f32 v117, -0.5, v111, v161
	v_mul_f32_e32 v100, v168, v151
	v_sub_f32_e32 v111, v201, v209
	v_mov_b32_e32 v119, v117
	v_fmac_f32_e32 v100, v169, v150
	v_fmac_f32_e32 v119, 0xbf737871, v111
	v_sub_f32_e32 v168, v202, v204
	v_sub_f32_e32 v165, v188, v190
	v_sub_f32_e32 v169, v197, v192
	v_fmac_f32_e32 v117, 0x3f737871, v111
	v_fmac_f32_e32 v119, 0xbf167918, v168
	v_add_f32_e32 v165, v165, v169
	v_fmac_f32_e32 v117, 0x3f167918, v168
	v_fmac_f32_e32 v119, 0x3e9e377a, v165
	v_fmac_f32_e32 v117, 0x3e9e377a, v165
	v_add_f32_e32 v165, v188, v197
	v_add_f32_e32 v31, v161, v188
	v_fma_f32 v161, -0.5, v165, v161
	v_mov_b32_e32 v165, v161
	v_fmac_f32_e32 v165, 0x3f737871, v168
	v_fmac_f32_e32 v161, 0xbf737871, v168
	;; [unrolled: 1-line block ×4, first 2 shown]
	v_add_f32_e32 v111, v162, v203
	v_add_f32_e32 v111, v111, v205
	;; [unrolled: 1-line block ×3, first 2 shown]
	v_mul_f32_e32 v101, v174, v145
	v_sub_f32_e32 v169, v190, v188
	v_sub_f32_e32 v174, v192, v197
	v_add_f32_e32 v168, v111, v211
	v_add_f32_e32 v111, v205, v208
	;; [unrolled: 1-line block ×3, first 2 shown]
	v_fma_f32 v174, -0.5, v111, v162
	v_mul_f32_e32 v27, v178, v149
	v_sub_f32_e32 v111, v189, v199
	v_mov_b32_e32 v178, v174
	v_fmac_f32_e32 v27, v179, v148
	v_fmac_f32_e32 v101, v175, v144
	;; [unrolled: 1-line block ×5, first 2 shown]
	v_sub_f32_e32 v169, v193, v195
	v_sub_f32_e32 v175, v203, v205
	;; [unrolled: 1-line block ×3, first 2 shown]
	v_fmac_f32_e32 v174, 0xbf737871, v111
	v_fmac_f32_e32 v178, 0x3f167918, v169
	v_add_f32_e32 v175, v175, v179
	v_fmac_f32_e32 v174, 0xbf167918, v169
	v_fmac_f32_e32 v178, 0x3e9e377a, v175
	;; [unrolled: 1-line block ×3, first 2 shown]
	v_add_f32_e32 v175, v203, v211
	v_fma_f32 v162, -0.5, v175, v162
	v_mov_b32_e32 v186, v162
	v_fmac_f32_e32 v186, 0xbf737871, v169
	v_fmac_f32_e32 v162, 0x3f737871, v169
	;; [unrolled: 1-line block ×4, first 2 shown]
	v_add_f32_e32 v111, v163, v189
	v_add_f32_e32 v111, v111, v193
	v_sub_f32_e32 v175, v205, v203
	v_sub_f32_e32 v179, v208, v211
	v_add_f32_e32 v111, v111, v195
	v_add_f32_e32 v175, v175, v179
	;; [unrolled: 1-line block ×4, first 2 shown]
	v_fmac_f32_e32 v186, 0x3e9e377a, v175
	v_fmac_f32_e32 v162, 0x3e9e377a, v175
	v_fma_f32 v175, -0.5, v111, v163
	v_sub_f32_e32 v111, v203, v211
	v_mov_b32_e32 v179, v175
	v_add_f32_e32 v31, v31, v190
	v_fmac_f32_e32 v179, 0xbf737871, v111
	v_sub_f32_e32 v188, v205, v208
	v_sub_f32_e32 v187, v189, v193
	;; [unrolled: 1-line block ×3, first 2 shown]
	v_fmac_f32_e32 v175, 0x3f737871, v111
	v_fmac_f32_e32 v179, 0xbf167918, v188
	v_add_f32_e32 v187, v187, v190
	v_fmac_f32_e32 v175, 0x3f167918, v188
	v_fmac_f32_e32 v179, 0x3e9e377a, v187
	;; [unrolled: 1-line block ×3, first 2 shown]
	v_add_f32_e32 v187, v189, v199
	v_fmac_f32_e32 v163, -0.5, v187
	v_mov_b32_e32 v187, v163
	v_fmac_f32_e32 v187, 0x3f737871, v188
	v_fmac_f32_e32 v163, 0xbf737871, v188
	;; [unrolled: 1-line block ×4, first 2 shown]
	v_add_f32_e32 v111, v156, v220
	v_add_f32_e32 v111, v111, v222
	v_add_f32_e32 v111, v111, v99
	v_sub_f32_e32 v189, v193, v189
	v_sub_f32_e32 v190, v195, v199
	v_add_f32_e32 v188, v111, v25
	v_add_f32_e32 v111, v222, v99
	;; [unrolled: 1-line block ×3, first 2 shown]
	v_fma_f32 v190, -0.5, v111, v156
	v_add_f32_e32 v31, v31, v192
	v_sub_f32_e32 v111, v213, v217
	v_mov_b32_e32 v192, v190
	v_fmac_f32_e32 v187, 0x3e9e377a, v189
	v_fmac_f32_e32 v163, 0x3e9e377a, v189
	;; [unrolled: 1-line block ×3, first 2 shown]
	v_sub_f32_e32 v189, v215, v216
	v_sub_f32_e32 v191, v220, v222
	;; [unrolled: 1-line block ×3, first 2 shown]
	v_fmac_f32_e32 v190, 0xbf737871, v111
	v_fmac_f32_e32 v192, 0x3f167918, v189
	v_add_f32_e32 v191, v191, v193
	v_fmac_f32_e32 v190, 0xbf167918, v189
	v_fmac_f32_e32 v192, 0x3e9e377a, v191
	v_fmac_f32_e32 v190, 0x3e9e377a, v191
	v_add_f32_e32 v191, v220, v25
	v_fma_f32 v156, -0.5, v191, v156
	v_mov_b32_e32 v194, v156
	v_fmac_f32_e32 v194, 0xbf737871, v189
	v_fmac_f32_e32 v156, 0x3f737871, v189
	;; [unrolled: 1-line block ×4, first 2 shown]
	v_add_f32_e32 v111, v157, v213
	v_add_f32_e32 v111, v111, v215
	v_sub_f32_e32 v191, v222, v220
	v_sub_f32_e32 v193, v99, v25
	v_add_f32_e32 v111, v111, v216
	v_add_f32_e32 v191, v191, v193
	v_add_f32_e32 v189, v111, v217
	v_add_f32_e32 v111, v215, v216
	v_fmac_f32_e32 v194, 0x3e9e377a, v191
	v_fmac_f32_e32 v156, 0x3e9e377a, v191
	v_fma_f32 v191, -0.5, v111, v157
	v_sub_f32_e32 v25, v220, v25
	v_mov_b32_e32 v193, v191
	v_fmac_f32_e32 v193, 0xbf737871, v25
	v_sub_f32_e32 v99, v222, v99
	v_sub_f32_e32 v111, v213, v215
	;; [unrolled: 1-line block ×3, first 2 shown]
	v_fmac_f32_e32 v191, 0x3f737871, v25
	v_fmac_f32_e32 v193, 0xbf167918, v99
	v_add_f32_e32 v111, v111, v195
	v_fmac_f32_e32 v191, 0x3f167918, v99
	v_fmac_f32_e32 v193, 0x3e9e377a, v111
	;; [unrolled: 1-line block ×3, first 2 shown]
	v_add_f32_e32 v111, v213, v217
	v_fma_f32 v157, -0.5, v111, v157
	v_mov_b32_e32 v195, v157
	v_fmac_f32_e32 v195, 0x3f737871, v99
	v_fmac_f32_e32 v157, 0xbf737871, v99
	v_fmac_f32_e32 v195, 0xbf167918, v25
	v_fmac_f32_e32 v157, 0x3f167918, v25
	v_add_f32_e32 v25, v158, v218
	v_add_f32_e32 v25, v25, v219
	v_sub_f32_e32 v111, v215, v213
	v_sub_f32_e32 v196, v216, v217
	v_add_f32_e32 v25, v25, v221
	v_add_f32_e32 v111, v111, v196
	;; [unrolled: 1-line block ×4, first 2 shown]
	v_fma_f32 v198, -0.5, v25, v158
	v_sub_f32_e32 v25, v176, v173
	v_mov_b32_e32 v200, v198
	v_add_f32_e32 v31, v31, v197
	v_fmac_f32_e32 v195, 0x3e9e377a, v111
	v_fmac_f32_e32 v157, 0x3e9e377a, v111
	;; [unrolled: 1-line block ×3, first 2 shown]
	v_sub_f32_e32 v99, v177, v214
	v_sub_f32_e32 v111, v218, v219
	;; [unrolled: 1-line block ×3, first 2 shown]
	v_fmac_f32_e32 v198, 0xbf737871, v25
	v_fmac_f32_e32 v200, 0x3f167918, v99
	v_add_f32_e32 v111, v111, v197
	v_fmac_f32_e32 v198, 0xbf167918, v99
	v_fmac_f32_e32 v200, 0x3e9e377a, v111
	;; [unrolled: 1-line block ×3, first 2 shown]
	v_add_f32_e32 v111, v218, v24
	v_fma_f32 v158, -0.5, v111, v158
	v_add_f32_e32 v30, v30, v202
	v_mov_b32_e32 v202, v158
	v_fmac_f32_e32 v202, 0xbf737871, v99
	v_fmac_f32_e32 v158, 0x3f737871, v99
	;; [unrolled: 1-line block ×4, first 2 shown]
	v_add_f32_e32 v25, v159, v176
	v_add_f32_e32 v25, v25, v177
	v_sub_f32_e32 v111, v219, v218
	v_sub_f32_e32 v197, v221, v24
	v_add_f32_e32 v25, v25, v214
	v_add_f32_e32 v111, v111, v197
	;; [unrolled: 1-line block ×4, first 2 shown]
	v_fma_f32 v199, -0.5, v25, v159
	v_sub_f32_e32 v24, v218, v24
	v_mov_b32_e32 v201, v199
	v_fmac_f32_e32 v202, 0x3e9e377a, v111
	v_fmac_f32_e32 v158, 0x3e9e377a, v111
	;; [unrolled: 1-line block ×3, first 2 shown]
	v_sub_f32_e32 v25, v219, v221
	v_sub_f32_e32 v99, v176, v177
	;; [unrolled: 1-line block ×3, first 2 shown]
	v_fmac_f32_e32 v199, 0x3f737871, v24
	v_fmac_f32_e32 v201, 0xbf167918, v25
	v_add_f32_e32 v99, v99, v111
	v_fmac_f32_e32 v199, 0x3f167918, v25
	v_fmac_f32_e32 v201, 0x3e9e377a, v99
	;; [unrolled: 1-line block ×3, first 2 shown]
	v_add_f32_e32 v99, v176, v173
	v_fmac_f32_e32 v159, -0.5, v99
	v_mov_b32_e32 v203, v159
	v_fmac_f32_e32 v203, 0x3f737871, v25
	v_fmac_f32_e32 v159, 0xbf737871, v25
	v_add_f32_e32 v25, v108, v109
	v_sub_f32_e32 v99, v177, v176
	v_sub_f32_e32 v111, v214, v173
	v_fma_f32 v176, -0.5, v25, v152
	v_add_f32_e32 v30, v30, v204
	v_fmac_f32_e32 v203, 0xbf167918, v24
	v_add_f32_e32 v99, v99, v111
	v_fmac_f32_e32 v159, 0x3f167918, v24
	v_sub_f32_e32 v25, v27, v102
	v_mov_b32_e32 v204, v176
	v_fmac_f32_e32 v203, 0x3e9e377a, v99
	v_fmac_f32_e32 v159, 0x3e9e377a, v99
	;; [unrolled: 1-line block ×3, first 2 shown]
	v_sub_f32_e32 v99, v100, v101
	v_sub_f32_e32 v111, v103, v108
	;; [unrolled: 1-line block ×3, first 2 shown]
	v_fmac_f32_e32 v176, 0xbf737871, v25
	v_fmac_f32_e32 v204, 0x3f167918, v99
	v_add_f32_e32 v111, v111, v173
	v_fmac_f32_e32 v176, 0xbf167918, v99
	v_fmac_f32_e32 v204, 0x3e9e377a, v111
	;; [unrolled: 1-line block ×3, first 2 shown]
	v_add_f32_e32 v111, v103, v110
	ds_write2_b64 v26, v[3:4], v[5:6] offset1:77
	ds_write2_b64 v26, v[9:10], v[7:8] offset0:154 offset1:231
	ds_write_b64 v26, v[1:2] offset:2464
	v_mov_b32_e32 v1, 0x181
	v_add_f32_e32 v24, v152, v103
	v_fma_f32 v152, -0.5, v111, v152
	v_cndmask_b32_e32 v1, 0, v1, vcc
	v_mov_b32_e32 v206, v152
	v_add_lshl_u32 v0, v0, v1, 3
	v_fmac_f32_e32 v206, 0xbf737871, v99
	v_fmac_f32_e32 v152, 0x3f737871, v99
	v_add_f32_e32 v99, v100, v101
	buffer_store_dword v223, off, s[20:23], 0 offset:208 ; 4-byte Folded Spill
	ds_write2_b64 v0, v[20:21], v[22:23] offset1:77
	ds_write2_b64 v0, v[28:29], v[166:167] offset0:154 offset1:231
	buffer_store_dword v0, off, s[20:23], 0 offset:452 ; 4-byte Folded Spill
	ds_write_b64 v0, v[11:12] offset:2464
	v_mul_u32_u24_e32 v0, 0x181, v154
	v_add_f32_e32 v30, v30, v209
	v_fma_f32 v177, -0.5, v99, v153
	v_add_lshl_u32 v0, v0, v155, 3
	v_add_f32_e32 v24, v24, v108
	v_sub_f32_e32 v99, v103, v110
	v_mov_b32_e32 v205, v177
	ds_write2_b64 v0, v[30:31], v[118:119] offset1:77
	ds_write2_b64 v0, v[164:165], v[160:161] offset0:154 offset1:231
	buffer_store_dword v0, off, s[20:23], 0 offset:456 ; 4-byte Folded Spill
	ds_write_b64 v0, v[116:117] offset:2464
	v_mov_b32_e32 v0, 3
	v_add_f32_e32 v24, v24, v109
	v_sub_f32_e32 v111, v108, v103
	v_sub_f32_e32 v173, v109, v110
	v_fmac_f32_e32 v205, 0xbf737871, v99
	v_sub_f32_e32 v103, v108, v109
	v_sub_f32_e32 v108, v27, v100
	;; [unrolled: 1-line block ×3, first 2 shown]
	v_fmac_f32_e32 v177, 0x3f737871, v99
	v_lshlrev_b32_sdwa v1, v0, v170 dst_sel:DWORD dst_unused:UNUSED_PAD src0_sel:DWORD src1_sel:BYTE_0
	v_fmac_f32_e32 v205, 0xbf167918, v103
	v_add_f32_e32 v108, v108, v109
	v_fmac_f32_e32 v177, 0x3f167918, v103
	v_add_u32_e32 v0, 0x1800, v1
	v_fmac_f32_e32 v205, 0x3e9e377a, v108
	v_fmac_f32_e32 v177, 0x3e9e377a, v108
	v_add_f32_e32 v108, v27, v102
	ds_write2_b64 v0, v[168:169], v[178:179] offset0:2 offset1:79
	ds_write2_b64 v0, v[186:187], v[162:163] offset0:156 offset1:233
	v_mad_legacy_u16 v0, v98, s5, v171
	v_fmac_f32_e32 v206, 0x3f167918, v25
	v_fmac_f32_e32 v152, 0xbf167918, v25
	v_add_f32_e32 v25, v153, v27
	v_fmac_f32_e32 v153, -0.5, v108
	v_lshlrev_b32_e32 v0, 3, v0
	v_add_f32_e32 v25, v25, v100
	v_mov_b32_e32 v207, v153
	v_sub_f32_e32 v27, v100, v27
	v_sub_f32_e32 v100, v101, v102
	v_fmac_f32_e32 v153, 0xbf737871, v103
	buffer_store_dword v1, off, s[20:23], 0 offset:460 ; 4-byte Folded Spill
	ds_write_b64 v1, v[174:175] offset:8624
	ds_write2_b64 v0, v[188:189], v[192:193] offset1:77
	ds_write2_b64 v0, v[194:195], v[156:157] offset0:154 offset1:231
	buffer_store_dword v0, off, s[20:23], 0 offset:464 ; 4-byte Folded Spill
	ds_write_b64 v0, v[190:191] offset:2464
	v_mad_legacy_u16 v0, v183, s5, v185
	v_add_f32_e32 v111, v111, v173
	v_add_f32_e32 v25, v25, v101
	v_fmac_f32_e32 v207, 0x3f737871, v103
	v_add_f32_e32 v27, v27, v100
	v_fmac_f32_e32 v153, 0x3f167918, v99
	v_lshlrev_b32_e32 v0, 3, v0
	v_lshlrev_b32_e32 v1, 3, v172
	v_add_f32_e32 v24, v24, v110
	v_fmac_f32_e32 v152, 0x3e9e377a, v111
	v_add_f32_e32 v25, v25, v102
	v_fmac_f32_e32 v207, 0xbf167918, v99
	v_fmac_f32_e32 v153, 0x3e9e377a, v27
	ds_write2_b64 v0, v[196:197], v[200:201] offset1:77
	ds_write2_b64 v0, v[202:203], v[158:159] offset0:154 offset1:231
	buffer_store_dword v0, off, s[20:23], 0 offset:468 ; 4-byte Folded Spill
	ds_write_b64 v0, v[198:199] offset:2464
	v_add_u32_e32 v0, 0x3000, v1
	v_fmac_f32_e32 v206, 0x3e9e377a, v111
	v_fmac_f32_e32 v207, 0x3e9e377a, v27
	ds_write2_b64 v0, v[24:25], v[204:205] offset0:4 offset1:81
	ds_write2_b64 v0, v[206:207], v[152:153] offset0:158 offset1:235
	buffer_store_dword v1, off, s[20:23], 0 offset:472 ; 4-byte Folded Spill
	ds_write_b64 v1, v[176:177] offset:14784
	s_waitcnt lgkmcnt(0)
	; wave barrier
	s_waitcnt lgkmcnt(0)
	ds_read2_b64 v[220:223], v26 offset1:55
	ds_read2_b64 v[208:211], v17 offset0:74 offset1:129
	ds_read2_b64 v[116:119], v96 offset0:2 offset1:57
	ds_read2_b64 v[224:227], v241 offset0:76 offset1:131
	ds_read2_b64 v[166:169], v97 offset0:4 offset1:59
	ds_read2_b64 v[174:177], v17 offset0:184 offset1:239
	ds_read2_b64 v[185:188], v241 offset0:186 offset1:241
	ds_read2_b64 v[216:219], v26 offset0:110 offset1:165
	ds_read2_b64 v[189:192], v96 offset0:112 offset1:167
	ds_read2_b64 v[193:196], v97 offset0:114 offset1:169
	ds_read2_b64 v[197:200], v229 offset0:38 offset1:93
	ds_read2_b64 v[201:204], v228 offset0:40 offset1:95
	ds_read2_b64 v[212:215], v232 offset0:92 offset1:147
	ds_read2_b64 v[20:23], v231 offset0:94 offset1:149
	ds_read2_b64 v[28:31], v230 offset0:96 offset1:151
	ds_read2_b64 v[232:235], v229 offset0:148 offset1:203
	ds_read2_b64 v[228:231], v228 offset0:150 offset1:205
	ds_read_b64 v[0:1], v26 offset:14960
	global_load_dwordx4 v[152:155], v19, s[14:15] offset:3040
	global_load_dwordx4 v[156:159], v19, s[14:15] offset:3024
	s_movk_i32 s5, 0x3c28
	s_waitcnt vmcnt(1) lgkmcnt(13)
	v_mul_f32_e32 v109, v166, v155
	s_waitcnt vmcnt(0)
	v_mul_f32_e32 v2, v211, v157
	v_fma_f32 v5, v210, v156, -v2
	v_mul_f32_e32 v2, v117, v159
	v_fma_f32 v7, v116, v158, -v2
	;; [unrolled: 2-line block ×4, first 2 shown]
	v_lshlrev_b32_e32 v2, 5, v181
	v_fmac_f32_e32 v109, v167, v154
	global_load_dwordx4 v[160:163], v2, s[14:15] offset:3040
	global_load_dwordx4 v[164:167], v2, s[14:15] offset:3024
	v_mul_f32_e32 v10, v210, v157
	v_mul_f32_e32 v108, v226, v153
	v_fmac_f32_e32 v10, v211, v156
	v_fmac_f32_e32 v108, v227, v152
	v_mul_f32_e32 v11, v116, v159
	v_fmac_f32_e32 v11, v117, v158
	v_sub_f32_e32 v3, v11, v108
	v_sub_f32_e32 v6, v5, v7
	;; [unrolled: 1-line block ×3, first 2 shown]
	v_add_f32_e32 v6, v6, v8
	s_waitcnt vmcnt(1)
	v_mul_f32_e32 v27, v168, v163
	s_waitcnt vmcnt(0) lgkmcnt(12)
	v_mul_f32_e32 v2, v175, v165
	v_fma_f32 v101, v174, v164, -v2
	v_mul_f32_e32 v2, v119, v167
	v_fma_f32 v102, v118, v166, -v2
	s_waitcnt lgkmcnt(11)
	v_mul_f32_e32 v2, v186, v161
	v_fma_f32 v103, v185, v160, -v2
	v_mul_f32_e32 v2, v169, v163
	v_mul_f32_e32 v238, v174, v165
	v_fma_f32 v110, v168, v162, -v2
	v_lshlrev_b32_e32 v2, 5, v180
	v_fmac_f32_e32 v238, v175, v164
	v_fmac_f32_e32 v27, v169, v162
	global_load_dwordx4 v[168:171], v2, s[14:15] offset:3040
	global_load_dwordx4 v[172:175], v2, s[14:15] offset:3024
	v_mul_f32_e32 v25, v185, v161
	v_fmac_f32_e32 v25, v186, v160
	v_mul_f32_e32 v99, v118, v167
	v_fmac_f32_e32 v99, v119, v166
	s_waitcnt vmcnt(1)
	v_mul_f32_e32 v251, v187, v169
	s_waitcnt vmcnt(0)
	v_mul_f32_e32 v2, v177, v173
	v_fma_f32 v239, v176, v172, -v2
	s_waitcnt lgkmcnt(9)
	v_mul_f32_e32 v2, v190, v175
	v_fma_f32 v240, v189, v174, -v2
	v_mul_f32_e32 v2, v188, v169
	v_fma_f32 v24, v187, v168, -v2
	s_waitcnt lgkmcnt(8)
	v_mul_f32_e32 v2, v194, v171
	v_mul_f32_e32 v245, v176, v173
	v_fma_f32 v100, v193, v170, -v2
	v_lshlrev_b32_e32 v2, 5, v182
	v_fmac_f32_e32 v245, v177, v172
	global_load_dwordx4 v[176:179], v2, s[14:15] offset:3040
	global_load_dwordx4 v[180:183], v2, s[14:15] offset:3024
	v_mul_f32_e32 v246, v189, v175
	v_fmac_f32_e32 v246, v190, v174
	v_fmac_f32_e32 v251, v188, v168
	v_mul_f32_e32 v255, v193, v171
	v_fmac_f32_e32 v255, v194, v170
	s_waitcnt vmcnt(1)
	v_mul_f32_e32 v243, v195, v179
	s_waitcnt vmcnt(0) lgkmcnt(7)
	v_mul_f32_e32 v2, v198, v181
	v_fma_f32 v247, v197, v180, -v2
	v_mul_f32_e32 v2, v192, v183
	v_fma_f32 v249, v191, v182, -v2
	s_waitcnt lgkmcnt(6)
	v_mul_f32_e32 v2, v202, v177
	v_fma_f32 v253, v201, v176, -v2
	v_mul_f32_e32 v2, v196, v179
	v_fma_f32 v236, v195, v178, -v2
	v_lshlrev_b32_e32 v2, 5, v184
	v_mul_f32_e32 v98, v191, v183
	global_load_dwordx4 v[184:187], v2, s[14:15] offset:3040
	global_load_dwordx4 v[188:191], v2, s[14:15] offset:3024
	v_mul_f32_e32 v12, v197, v181
	v_fmac_f32_e32 v12, v198, v180
	v_fmac_f32_e32 v98, v192, v182
	;; [unrolled: 1-line block ×3, first 2 shown]
	v_mul_f32_e32 v211, v201, v177
	v_fmac_f32_e32 v211, v202, v176
	s_waitcnt vmcnt(1)
	v_mul_f32_e32 v227, v203, v185
	s_waitcnt vmcnt(0)
	v_mul_f32_e32 v2, v200, v189
	v_fma_f32 v248, v199, v188, -v2
	s_waitcnt lgkmcnt(4)
	v_mul_f32_e32 v2, v21, v191
	v_fma_f32 v250, v20, v190, -v2
	v_mul_f32_e32 v2, v204, v185
	v_fma_f32 v254, v203, v184, -v2
	s_waitcnt lgkmcnt(3)
	v_mul_f32_e32 v2, v29, v187
	v_fma_f32 v242, v28, v186, -v2
	v_lshlrev_b32_e32 v2, 5, v18
	v_mul_f32_e32 v19, v199, v189
	global_load_dwordx4 v[192:195], v2, s[14:15] offset:3040
	global_load_dwordx4 v[196:199], v2, s[14:15] offset:3024
	v_fmac_f32_e32 v19, v200, v188
	v_fmac_f32_e32 v227, v204, v184
	v_mul_f32_e32 v210, v20, v191
	v_fmac_f32_e32 v210, v21, v190
	v_sub_f32_e32 v20, v7, v5
	v_sub_f32_e32 v21, v9, v111
	v_add_f32_e32 v20, v20, v21
	v_sub_f32_e32 v21, v7, v9
	v_mul_f32_e32 v244, v28, v187
	v_sub_f32_e32 v28, v110, v103
	v_fmac_f32_e32 v244, v29, v186
	v_sub_f32_e32 v29, v103, v110
	s_waitcnt vmcnt(0) lgkmcnt(2)
	v_mul_f32_e32 v2, v233, v197
	v_fma_f32 v252, v232, v196, -v2
	v_mul_f32_e32 v2, v23, v199
	v_mul_f32_e32 v18, v232, v197
	v_fma_f32 v232, v22, v198, -v2
	s_waitcnt lgkmcnt(1)
	v_mul_f32_e32 v2, v229, v193
	v_fmac_f32_e32 v18, v233, v196
	v_fma_f32 v233, v228, v192, -v2
	v_mul_f32_e32 v2, v31, v195
	v_fma_f32 v237, v30, v194, -v2
	v_lshlrev_b32_e32 v2, 5, v13
	global_load_dwordx4 v[200:203], v2, s[14:15] offset:3040
	global_load_dwordx4 v[204:207], v2, s[14:15] offset:3024
	v_mul_f32_e32 v226, v22, v199
	v_fmac_f32_e32 v226, v23, v198
	v_sub_f32_e32 v23, v101, v102
	v_add_f32_e32 v23, v23, v28
	v_mul_f32_e32 v228, v228, v193
	v_fmac_f32_e32 v228, v229, v192
	v_mul_f32_e32 v229, v30, v195
	v_sub_f32_e32 v30, v101, v110
	v_fmac_f32_e32 v229, v31, v194
	v_sub_f32_e32 v31, v102, v103
	s_waitcnt vmcnt(0)
	v_mul_f32_e32 v2, v235, v205
	v_fma_f32 v116, v234, v204, -v2
	v_mul_f32_e32 v2, v225, v207
	v_fma_f32 v117, v224, v206, -v2
	v_mul_f32_e32 v224, v224, v207
	v_mul_f32_e32 v2, v231, v201
	v_fmac_f32_e32 v224, v225, v206
	v_fma_f32 v118, v230, v200, -v2
	v_mul_f32_e32 v225, v230, v201
	s_waitcnt lgkmcnt(0)
	v_mul_f32_e32 v230, v0, v203
	v_mul_f32_e32 v2, v1, v203
	v_fmac_f32_e32 v230, v1, v202
	v_add_f32_e32 v1, v7, v9
	v_fma_f32 v119, v0, v202, -v2
	v_fma_f32 v2, -0.5, v1, v220
	v_sub_f32_e32 v1, v10, v109
	v_mov_b32_e32 v4, v2
	v_fmac_f32_e32 v4, 0x3f737871, v1
	v_fmac_f32_e32 v2, 0xbf737871, v1
	;; [unrolled: 1-line block ×6, first 2 shown]
	v_add_f32_e32 v6, v5, v111
	v_fma_f32 v6, -0.5, v6, v220
	v_mov_b32_e32 v8, v6
	v_fmac_f32_e32 v8, 0xbf737871, v3
	v_fmac_f32_e32 v6, 0x3f737871, v3
	v_add_f32_e32 v3, v11, v108
	v_add_f32_e32 v0, v220, v5
	v_fmac_f32_e32 v8, 0x3f167918, v1
	v_fmac_f32_e32 v6, 0xbf167918, v1
	v_fma_f32 v3, -0.5, v3, v221
	v_add_f32_e32 v0, v0, v7
	v_fmac_f32_e32 v8, 0x3e9e377a, v20
	v_fmac_f32_e32 v6, 0x3e9e377a, v20
	v_sub_f32_e32 v20, v5, v111
	v_mov_b32_e32 v5, v3
	v_add_f32_e32 v0, v0, v9
	v_fmac_f32_e32 v5, 0xbf737871, v20
	v_sub_f32_e32 v7, v10, v11
	v_sub_f32_e32 v9, v109, v108
	v_fmac_f32_e32 v3, 0x3f737871, v20
	v_fmac_f32_e32 v5, 0xbf167918, v21
	v_add_f32_e32 v7, v7, v9
	v_fmac_f32_e32 v3, 0x3f167918, v21
	v_fmac_f32_e32 v5, 0x3e9e377a, v7
	;; [unrolled: 1-line block ×3, first 2 shown]
	v_add_f32_e32 v7, v10, v109
	v_fma_f32 v7, -0.5, v7, v221
	v_add_f32_e32 v1, v221, v10
	v_mov_b32_e32 v9, v7
	v_add_f32_e32 v1, v1, v11
	v_fmac_f32_e32 v9, 0x3f737871, v21
	v_sub_f32_e32 v10, v11, v10
	v_sub_f32_e32 v11, v108, v109
	v_fmac_f32_e32 v7, 0xbf737871, v21
	v_fmac_f32_e32 v9, 0xbf167918, v20
	v_add_f32_e32 v10, v10, v11
	v_fmac_f32_e32 v7, 0x3f167918, v20
	v_fmac_f32_e32 v9, 0x3e9e377a, v10
	;; [unrolled: 1-line block ×3, first 2 shown]
	v_add_f32_e32 v10, v222, v101
	v_add_f32_e32 v10, v10, v102
	;; [unrolled: 1-line block ×5, first 2 shown]
	v_fma_f32 v10, -0.5, v10, v222
	v_sub_f32_e32 v11, v238, v27
	v_mov_b32_e32 v22, v10
	v_fmac_f32_e32 v22, 0x3f737871, v11
	v_sub_f32_e32 v21, v99, v25
	v_fmac_f32_e32 v10, 0xbf737871, v11
	v_fmac_f32_e32 v22, 0x3f167918, v21
	;; [unrolled: 1-line block ×5, first 2 shown]
	v_add_f32_e32 v23, v101, v110
	v_fma_f32 v222, -0.5, v23, v222
	v_mov_b32_e32 v28, v222
	v_fmac_f32_e32 v28, 0xbf737871, v21
	v_fmac_f32_e32 v222, 0x3f737871, v21
	;; [unrolled: 1-line block ×4, first 2 shown]
	v_add_f32_e32 v11, v223, v238
	v_add_f32_e32 v11, v11, v99
	;; [unrolled: 1-line block ×3, first 2 shown]
	v_sub_f32_e32 v23, v102, v101
	v_add_f32_e32 v21, v11, v27
	v_add_f32_e32 v11, v99, v25
	;; [unrolled: 1-line block ×3, first 2 shown]
	v_fma_f32 v11, -0.5, v11, v223
	v_fmac_f32_e32 v28, 0x3e9e377a, v23
	v_fmac_f32_e32 v222, 0x3e9e377a, v23
	v_mov_b32_e32 v23, v11
	v_fmac_f32_e32 v23, 0xbf737871, v30
	v_sub_f32_e32 v29, v238, v99
	v_sub_f32_e32 v101, v27, v25
	v_fmac_f32_e32 v11, 0x3f737871, v30
	v_fmac_f32_e32 v23, 0xbf167918, v31
	v_add_f32_e32 v29, v29, v101
	v_fmac_f32_e32 v11, 0x3f167918, v31
	v_fmac_f32_e32 v23, 0x3e9e377a, v29
	;; [unrolled: 1-line block ×3, first 2 shown]
	v_add_f32_e32 v29, v238, v27
	v_fmac_f32_e32 v223, -0.5, v29
	v_mov_b32_e32 v29, v223
	v_fmac_f32_e32 v29, 0x3f737871, v31
	v_sub_f32_e32 v99, v99, v238
	v_sub_f32_e32 v25, v25, v27
	v_fmac_f32_e32 v223, 0xbf737871, v31
	v_fmac_f32_e32 v29, 0xbf167918, v30
	v_add_f32_e32 v25, v99, v25
	v_fmac_f32_e32 v223, 0x3f167918, v30
	v_fmac_f32_e32 v29, 0x3e9e377a, v25
	;; [unrolled: 1-line block ×3, first 2 shown]
	v_add_f32_e32 v25, v216, v239
	v_add_f32_e32 v25, v25, v240
	;; [unrolled: 1-line block ×5, first 2 shown]
	v_fma_f32 v101, -0.5, v25, v216
	v_sub_f32_e32 v25, v245, v255
	v_mov_b32_e32 v99, v101
	v_fmac_f32_e32 v99, 0x3f737871, v25
	v_sub_f32_e32 v27, v246, v251
	v_sub_f32_e32 v31, v239, v240
	;; [unrolled: 1-line block ×3, first 2 shown]
	v_fmac_f32_e32 v101, 0xbf737871, v25
	v_fmac_f32_e32 v99, 0x3f167918, v27
	v_add_f32_e32 v31, v31, v102
	v_fmac_f32_e32 v101, 0xbf167918, v27
	v_fmac_f32_e32 v99, 0x3e9e377a, v31
	;; [unrolled: 1-line block ×3, first 2 shown]
	v_add_f32_e32 v31, v239, v100
	v_add_f32_e32 v1, v1, v108
	v_fma_f32 v108, -0.5, v31, v216
	v_mov_b32_e32 v110, v108
	v_fmac_f32_e32 v110, 0xbf737871, v27
	v_fmac_f32_e32 v108, 0x3f737871, v27
	;; [unrolled: 1-line block ×4, first 2 shown]
	v_add_f32_e32 v25, v217, v245
	v_sub_f32_e32 v31, v240, v239
	v_sub_f32_e32 v102, v24, v100
	v_add_f32_e32 v25, v25, v246
	v_add_f32_e32 v31, v31, v102
	;; [unrolled: 1-line block ×3, first 2 shown]
	v_fmac_f32_e32 v110, 0x3e9e377a, v31
	v_fmac_f32_e32 v108, 0x3e9e377a, v31
	v_add_f32_e32 v31, v25, v255
	v_add_f32_e32 v25, v246, v251
	v_fma_f32 v102, -0.5, v25, v217
	v_sub_f32_e32 v25, v239, v100
	v_mov_b32_e32 v100, v102
	v_fmac_f32_e32 v100, 0xbf737871, v25
	v_sub_f32_e32 v24, v240, v24
	v_sub_f32_e32 v27, v245, v246
	;; [unrolled: 1-line block ×3, first 2 shown]
	v_fmac_f32_e32 v102, 0x3f737871, v25
	v_fmac_f32_e32 v100, 0xbf167918, v24
	v_add_f32_e32 v27, v27, v103
	v_fmac_f32_e32 v102, 0x3f167918, v24
	v_fmac_f32_e32 v100, 0x3e9e377a, v27
	;; [unrolled: 1-line block ×3, first 2 shown]
	v_add_f32_e32 v27, v245, v255
	v_add_f32_e32 v1, v1, v109
	v_fma_f32 v109, -0.5, v27, v217
	v_add_f32_e32 v0, v0, v111
	v_mov_b32_e32 v111, v109
	v_fmac_f32_e32 v111, 0x3f737871, v24
	v_fmac_f32_e32 v109, 0xbf737871, v24
	;; [unrolled: 1-line block ×4, first 2 shown]
	v_add_f32_e32 v25, v249, v253
	v_sub_f32_e32 v27, v246, v245
	v_sub_f32_e32 v103, v251, v255
	v_fma_f32 v216, -0.5, v25, v218
	v_add_f32_e32 v27, v27, v103
	v_sub_f32_e32 v25, v12, v243
	v_mov_b32_e32 v220, v216
	v_fmac_f32_e32 v111, 0x3e9e377a, v27
	v_fmac_f32_e32 v109, 0x3e9e377a, v27
	;; [unrolled: 1-line block ×3, first 2 shown]
	v_sub_f32_e32 v27, v98, v211
	v_sub_f32_e32 v103, v247, v249
	;; [unrolled: 1-line block ×3, first 2 shown]
	v_fmac_f32_e32 v216, 0xbf737871, v25
	v_fmac_f32_e32 v220, 0x3f167918, v27
	v_add_f32_e32 v103, v103, v217
	v_fmac_f32_e32 v216, 0xbf167918, v27
	v_fmac_f32_e32 v220, 0x3e9e377a, v103
	;; [unrolled: 1-line block ×3, first 2 shown]
	v_add_f32_e32 v103, v247, v236
	v_add_f32_e32 v24, v218, v247
	v_fma_f32 v218, -0.5, v103, v218
	v_mul_f32_e32 v13, v234, v205
	v_mov_b32_e32 v234, v218
	v_fmac_f32_e32 v234, 0xbf737871, v27
	v_sub_f32_e32 v103, v249, v247
	v_sub_f32_e32 v217, v253, v236
	v_fmac_f32_e32 v218, 0x3f737871, v27
	v_add_f32_e32 v27, v98, v211
	v_add_f32_e32 v103, v103, v217
	v_fma_f32 v217, -0.5, v27, v219
	v_fmac_f32_e32 v234, 0x3f167918, v25
	v_fmac_f32_e32 v218, 0xbf167918, v25
	v_sub_f32_e32 v27, v247, v236
	v_mov_b32_e32 v221, v217
	v_fmac_f32_e32 v13, v235, v204
	v_fmac_f32_e32 v225, v231, v200
	;; [unrolled: 1-line block ×5, first 2 shown]
	v_sub_f32_e32 v103, v249, v253
	v_sub_f32_e32 v231, v12, v98
	;; [unrolled: 1-line block ×3, first 2 shown]
	v_fmac_f32_e32 v217, 0x3f737871, v27
	v_fmac_f32_e32 v221, 0xbf167918, v103
	v_add_f32_e32 v231, v231, v235
	v_fmac_f32_e32 v217, 0x3f167918, v103
	v_fmac_f32_e32 v221, 0x3e9e377a, v231
	;; [unrolled: 1-line block ×3, first 2 shown]
	v_add_f32_e32 v231, v12, v243
	v_add_f32_e32 v25, v219, v12
	v_fmac_f32_e32 v219, -0.5, v231
	v_mov_b32_e32 v235, v219
	v_add_f32_e32 v25, v25, v98
	v_fmac_f32_e32 v235, 0x3f737871, v103
	v_sub_f32_e32 v12, v98, v12
	v_sub_f32_e32 v98, v211, v243
	v_fmac_f32_e32 v219, 0xbf737871, v103
	v_fmac_f32_e32 v235, 0xbf167918, v27
	v_add_f32_e32 v12, v12, v98
	v_fmac_f32_e32 v219, 0x3f167918, v27
	v_fmac_f32_e32 v235, 0x3e9e377a, v12
	;; [unrolled: 1-line block ×3, first 2 shown]
	v_add_f32_e32 v12, v212, v248
	v_add_f32_e32 v12, v12, v250
	;; [unrolled: 1-line block ×6, first 2 shown]
	v_fma_f32 v238, -0.5, v12, v212
	v_sub_f32_e32 v12, v19, v244
	v_mov_b32_e32 v245, v238
	v_fmac_f32_e32 v245, 0x3f737871, v12
	v_sub_f32_e32 v27, v210, v227
	v_sub_f32_e32 v98, v248, v250
	;; [unrolled: 1-line block ×3, first 2 shown]
	v_fmac_f32_e32 v238, 0xbf737871, v12
	v_fmac_f32_e32 v245, 0x3f167918, v27
	v_add_f32_e32 v98, v98, v103
	v_fmac_f32_e32 v238, 0xbf167918, v27
	v_fmac_f32_e32 v245, 0x3e9e377a, v98
	;; [unrolled: 1-line block ×3, first 2 shown]
	v_add_f32_e32 v98, v248, v242
	v_fma_f32 v247, -0.5, v98, v212
	v_add_f32_e32 v24, v24, v249
	v_mov_b32_e32 v249, v247
	v_fmac_f32_e32 v249, 0xbf737871, v27
	v_fmac_f32_e32 v247, 0x3f737871, v27
	;; [unrolled: 1-line block ×4, first 2 shown]
	v_add_f32_e32 v12, v213, v19
	v_add_f32_e32 v12, v12, v210
	v_add_f32_e32 v12, v12, v227
	v_add_f32_e32 v212, v12, v244
	v_add_f32_e32 v12, v210, v227
	v_sub_f32_e32 v98, v250, v248
	v_sub_f32_e32 v103, v254, v242
	v_fma_f32 v239, -0.5, v12, v213
	v_add_f32_e32 v98, v98, v103
	v_sub_f32_e32 v12, v248, v242
	v_mov_b32_e32 v246, v239
	v_fmac_f32_e32 v249, 0x3e9e377a, v98
	v_fmac_f32_e32 v247, 0x3e9e377a, v98
	;; [unrolled: 1-line block ×3, first 2 shown]
	v_sub_f32_e32 v27, v250, v254
	v_sub_f32_e32 v98, v19, v210
	;; [unrolled: 1-line block ×3, first 2 shown]
	v_fmac_f32_e32 v239, 0x3f737871, v12
	v_fmac_f32_e32 v246, 0xbf167918, v27
	v_add_f32_e32 v98, v98, v103
	v_fmac_f32_e32 v239, 0x3f167918, v27
	v_fmac_f32_e32 v246, 0x3e9e377a, v98
	;; [unrolled: 1-line block ×3, first 2 shown]
	v_add_f32_e32 v98, v19, v244
	v_fma_f32 v248, -0.5, v98, v213
	v_mov_b32_e32 v250, v248
	v_fmac_f32_e32 v250, 0x3f737871, v27
	v_fmac_f32_e32 v248, 0xbf737871, v27
	;; [unrolled: 1-line block ×4, first 2 shown]
	v_add_f32_e32 v12, v214, v252
	v_add_f32_e32 v12, v12, v232
	;; [unrolled: 1-line block ×6, first 2 shown]
	v_sub_f32_e32 v19, v210, v19
	v_sub_f32_e32 v98, v227, v244
	v_fma_f32 v253, -0.5, v12, v214
	v_add_f32_e32 v24, v24, v236
	v_add_f32_e32 v19, v19, v98
	v_sub_f32_e32 v12, v18, v229
	v_mov_b32_e32 v236, v253
	v_fmac_f32_e32 v250, 0x3e9e377a, v19
	v_fmac_f32_e32 v248, 0x3e9e377a, v19
	;; [unrolled: 1-line block ×3, first 2 shown]
	v_sub_f32_e32 v19, v226, v228
	v_sub_f32_e32 v27, v252, v232
	;; [unrolled: 1-line block ×3, first 2 shown]
	v_fmac_f32_e32 v253, 0xbf737871, v12
	v_fmac_f32_e32 v236, 0x3f167918, v19
	v_add_f32_e32 v27, v27, v98
	v_fmac_f32_e32 v253, 0xbf167918, v19
	v_fmac_f32_e32 v236, 0x3e9e377a, v27
	;; [unrolled: 1-line block ×3, first 2 shown]
	v_add_f32_e32 v27, v252, v237
	v_fma_f32 v214, -0.5, v27, v214
	v_mov_b32_e32 v231, v214
	v_fmac_f32_e32 v231, 0xbf737871, v19
	v_fmac_f32_e32 v214, 0x3f737871, v19
	;; [unrolled: 1-line block ×4, first 2 shown]
	v_add_f32_e32 v12, v215, v18
	v_add_f32_e32 v12, v12, v226
	;; [unrolled: 1-line block ×6, first 2 shown]
	v_sub_f32_e32 v27, v232, v252
	v_sub_f32_e32 v98, v233, v237
	v_fma_f32 v254, -0.5, v12, v215
	v_add_f32_e32 v27, v27, v98
	v_sub_f32_e32 v12, v252, v237
	v_mov_b32_e32 v237, v254
	v_fmac_f32_e32 v231, 0x3e9e377a, v27
	v_fmac_f32_e32 v214, 0x3e9e377a, v27
	;; [unrolled: 1-line block ×3, first 2 shown]
	v_sub_f32_e32 v19, v232, v233
	v_sub_f32_e32 v27, v18, v226
	;; [unrolled: 1-line block ×3, first 2 shown]
	v_fmac_f32_e32 v254, 0x3f737871, v12
	v_fmac_f32_e32 v237, 0xbf167918, v19
	v_add_f32_e32 v27, v27, v98
	v_fmac_f32_e32 v254, 0x3f167918, v19
	v_fmac_f32_e32 v237, 0x3e9e377a, v27
	;; [unrolled: 1-line block ×3, first 2 shown]
	v_add_f32_e32 v27, v18, v229
	v_fmac_f32_e32 v215, -0.5, v27
	v_mov_b32_e32 v232, v215
	v_fmac_f32_e32 v232, 0x3f737871, v19
	v_fmac_f32_e32 v215, 0xbf737871, v19
	;; [unrolled: 1-line block ×4, first 2 shown]
	v_add_f32_e32 v12, v208, v116
	v_sub_f32_e32 v18, v226, v18
	v_sub_f32_e32 v27, v228, v229
	v_add_f32_e32 v12, v12, v117
	v_add_f32_e32 v18, v18, v27
	;; [unrolled: 1-line block ×3, first 2 shown]
	v_fmac_f32_e32 v232, 0x3e9e377a, v18
	v_fmac_f32_e32 v215, 0x3e9e377a, v18
	v_add_f32_e32 v18, v12, v119
	v_add_f32_e32 v12, v117, v118
	v_fma_f32 v226, -0.5, v12, v208
	v_sub_f32_e32 v12, v13, v230
	v_mov_b32_e32 v228, v226
	v_fmac_f32_e32 v228, 0x3f737871, v12
	v_sub_f32_e32 v19, v224, v225
	v_sub_f32_e32 v27, v116, v117
	;; [unrolled: 1-line block ×3, first 2 shown]
	v_fmac_f32_e32 v226, 0xbf737871, v12
	v_fmac_f32_e32 v228, 0x3f167918, v19
	v_add_f32_e32 v27, v27, v98
	v_fmac_f32_e32 v226, 0xbf167918, v19
	v_fmac_f32_e32 v228, 0x3e9e377a, v27
	;; [unrolled: 1-line block ×3, first 2 shown]
	v_add_f32_e32 v27, v116, v119
	v_fma_f32 v208, -0.5, v27, v208
	v_mov_b32_e32 v251, v208
	v_fmac_f32_e32 v251, 0xbf737871, v19
	v_fmac_f32_e32 v208, 0x3f737871, v19
	;; [unrolled: 1-line block ×4, first 2 shown]
	v_add_f32_e32 v12, v209, v13
	v_add_f32_e32 v12, v12, v224
	;; [unrolled: 1-line block ×5, first 2 shown]
	v_sub_f32_e32 v27, v117, v116
	v_sub_f32_e32 v98, v118, v119
	v_fma_f32 v227, -0.5, v12, v209
	v_add_f32_e32 v27, v27, v98
	v_sub_f32_e32 v12, v116, v119
	v_mov_b32_e32 v229, v227
	v_fmac_f32_e32 v251, 0x3e9e377a, v27
	v_fmac_f32_e32 v208, 0x3e9e377a, v27
	;; [unrolled: 1-line block ×3, first 2 shown]
	v_sub_f32_e32 v27, v117, v118
	v_sub_f32_e32 v98, v13, v224
	;; [unrolled: 1-line block ×3, first 2 shown]
	v_fmac_f32_e32 v227, 0x3f737871, v12
	v_fmac_f32_e32 v229, 0xbf167918, v27
	v_add_f32_e32 v98, v98, v103
	v_fmac_f32_e32 v227, 0x3f167918, v27
	v_fmac_f32_e32 v229, 0x3e9e377a, v98
	;; [unrolled: 1-line block ×3, first 2 shown]
	v_add_f32_e32 v98, v13, v230
	v_fmac_f32_e32 v209, -0.5, v98
	ds_write_b64 v26, v[4:5] offset:3080
	ds_write_b64 v26, v[8:9] offset:6160
	;; [unrolled: 1-line block ×4, first 2 shown]
	ds_write2_b64 v26, v[0:1], v[20:21] offset1:55
	ds_write2_b64 v17, v[22:23], v[99:100] offset0:184 offset1:239
	ds_write2_b64 v96, v[28:29], v[110:111] offset0:57 offset1:112
	ds_write2_b64 v241, v[222:223], v[108:109] offset0:186 offset1:241
	ds_write2_b64 v97, v[10:11], v[101:102] offset0:59 offset1:114
	ds_write2_b64 v26, v[30:31], v[24:25] offset0:110 offset1:165
	ds_write_b64 v26, v[234:235] offset:7480
	ds_write_b64 v26, v[218:219] offset:10560
	;; [unrolled: 1-line block ×3, first 2 shown]
	ds_write2_b64 v16, v[220:221], v[245:246] offset0:38 offset1:93
	ds_write_b64 v26, v[247:248] offset:11000
	ds_write_b64 v26, v[238:239] offset:14080
	v_add_co_u32_e32 v2, vcc, s5, v14
	v_mov_b32_e32 v252, v209
	v_addc_co_u32_e32 v3, vcc, 0, v15, vcc
	v_fmac_f32_e32 v252, 0x3f737871, v27
	v_sub_f32_e32 v13, v224, v13
	v_sub_f32_e32 v98, v225, v230
	v_fmac_f32_e32 v209, 0xbf737871, v27
	v_add_co_u32_e32 v0, vcc, s4, v14
	v_fmac_f32_e32 v252, 0xbf167918, v12
	v_add_f32_e32 v13, v13, v98
	v_fmac_f32_e32 v209, 0x3f167918, v12
	v_add_u32_e32 v10, 0x400, v26
	v_add_u32_e32 v233, 0x1c00, v26
	v_addc_co_u32_e32 v1, vcc, 0, v15, vcc
	v_fmac_f32_e32 v252, 0x3e9e377a, v13
	v_fmac_f32_e32 v209, 0x3e9e377a, v13
	ds_write2_b64 v10, v[211:212], v[242:243] offset0:92 offset1:147
	ds_write2_b64 v233, v[249:250], v[231:232] offset0:94 offset1:149
	ds_write_b64 v26, v[214:215] offset:11440
	ds_write_b64 v26, v[253:254] offset:14520
	;; [unrolled: 1-line block ×3, first 2 shown]
	ds_write2_b64 v16, v[236:237], v[228:229] offset0:148 offset1:203
	ds_write_b64 v26, v[251:252] offset:8800
	ds_write_b64 v26, v[208:209] offset:11880
	;; [unrolled: 1-line block ×3, first 2 shown]
	s_waitcnt lgkmcnt(0)
	; wave barrier
	s_waitcnt lgkmcnt(0)
	global_load_dwordx2 v[0:1], v[0:1], off offset:3112
	ds_read2_b64 v[6:9], v26 offset1:55
	s_movk_i32 s4, 0x4000
	v_add_co_u32_e32 v102, vcc, s4, v14
	v_addc_co_u32_e32 v103, vcc, 0, v15, vcc
	s_movk_i32 s4, 0x5000
	v_mov_b32_e32 v250, v10
	v_add_u32_e32 v229, 0x3400, v26
	v_add_u32_e32 v220, 0x2c00, v26
	v_mov_b32_e32 v251, v17
	v_mov_b32_e32 v249, v229
	s_mov_b32 s5, 0xbf3bfb3b
	s_waitcnt vmcnt(0) lgkmcnt(0)
	v_mul_f32_e32 v4, v7, v1
	v_mul_f32_e32 v5, v6, v1
	v_fma_f32 v4, v6, v0, -v4
	v_fmac_f32_e32 v5, v7, v0
	global_load_dwordx2 v[0:1], v[2:3], off offset:2200
	ds_write_b64 v26, v[4:5]
	ds_read2_b64 v[18:21], v10 offset0:92 offset1:147
	v_add_co_u32_e32 v6, vcc, s4, v14
	v_addc_co_u32_e32 v7, vcc, 0, v15, vcc
	ds_read2_b64 v[212:215], v96 offset0:2 offset1:57
	ds_read2_b64 v[27:30], v241 offset0:76 offset1:131
	s_movk_i32 s4, 0x6000
	ds_read2_b64 v[98:101], v97 offset0:114 offset1:169
	ds_read2_b64 v[108:111], v17 offset0:74 offset1:129
	s_waitcnt vmcnt(0) lgkmcnt(4)
	v_mul_f32_e32 v4, v21, v1
	v_mul_f32_e32 v25, v20, v1
	v_fma_f32 v24, v20, v0, -v4
	v_fmac_f32_e32 v25, v21, v0
	global_load_dwordx2 v[0:1], v[102:103], off offset:3416
	ds_read2_b64 v[20:23], v16 offset0:38 offset1:93
	s_waitcnt vmcnt(0) lgkmcnt(0)
	v_mul_f32_e32 v4, v21, v1
	v_mul_f32_e32 v13, v20, v1
	v_fma_f32 v12, v20, v0, -v4
	v_fmac_f32_e32 v13, v21, v0
	global_load_dwordx2 v[0:1], v[6:7], off offset:1520
	s_waitcnt vmcnt(0)
	v_mul_f32_e32 v4, v215, v1
	v_mul_f32_e32 v117, v214, v1
	v_fma_f32 v116, v214, v0, -v4
	v_fmac_f32_e32 v117, v215, v0
	global_load_dwordx2 v[0:1], v[6:7], off offset:3720
	v_add_u32_e32 v214, 0x2800, v26
	ds_read2_b64 v[208:211], v214 offset0:40 offset1:95
	s_waitcnt vmcnt(0)
	v_mul_f32_e32 v4, v28, v1
	v_mul_f32_e32 v11, v27, v1
	v_fma_f32 v10, v27, v0, -v4
	v_fmac_f32_e32 v11, v28, v0
	v_add_co_u32_e32 v0, vcc, s4, v14
	v_addc_co_u32_e32 v1, vcc, 0, v15, vcc
	global_load_dwordx2 v[4:5], v[0:1], off offset:1824
	s_movk_i32 s4, 0x7000
	s_waitcnt vmcnt(0) lgkmcnt(0)
	v_mul_f32_e32 v20, v211, v5
	v_fma_f32 v118, v210, v4, -v20
	global_load_dwordx2 v[20:21], v[0:1], off offset:4024
	v_mul_f32_e32 v119, v210, v5
	v_fmac_f32_e32 v119, v211, v4
	s_waitcnt vmcnt(0)
	v_mul_f32_e32 v4, v99, v21
	v_mul_f32_e32 v5, v98, v21
	v_fma_f32 v4, v98, v20, -v4
	v_fmac_f32_e32 v5, v99, v20
	global_load_dwordx2 v[20:21], v[2:3], off offset:440
	s_waitcnt vmcnt(0)
	v_mul_f32_e32 v27, v9, v21
	v_mul_f32_e32 v211, v8, v21
	v_fma_f32 v210, v8, v20, -v27
	v_fmac_f32_e32 v211, v9, v20
	global_load_dwordx2 v[8:9], v[2:3], off offset:2640
	;; [unrolled: 6-line block ×3, first 2 shown]
	ds_write2_b64 v17, v[24:25], v[20:21] offset0:19 offset1:74
	s_waitcnt vmcnt(0)
	v_mul_f32_e32 v20, v23, v9
	v_mul_f32_e32 v25, v22, v9
	v_fma_f32 v24, v22, v8, -v20
	v_fmac_f32_e32 v25, v23, v8
	global_load_dwordx2 v[8:9], v[6:7], off offset:1960
	ds_read2_b64 v[20:23], v96 offset0:112 offset1:167
	s_waitcnt vmcnt(0) lgkmcnt(0)
	v_mul_f32_e32 v27, v21, v9
	v_mul_f32_e32 v28, v20, v9
	v_fma_f32 v27, v20, v8, -v27
	v_fmac_f32_e32 v28, v21, v8
	global_load_dwordx2 v[8:9], v[0:1], off offset:64
	ds_write2_b64 v96, v[116:117], v[27:28] offset0:57 offset1:112
	s_waitcnt vmcnt(0)
	v_mul_f32_e32 v20, v30, v9
	v_mul_f32_e32 v103, v29, v9
	v_fma_f32 v102, v29, v8, -v20
	v_fmac_f32_e32 v103, v30, v8
	global_load_dwordx2 v[8:9], v[0:1], off offset:2264
	ds_read2_b64 v[27:30], v214 offset0:150 offset1:205
	s_waitcnt vmcnt(0) lgkmcnt(0)
	v_mul_f32_e32 v20, v28, v9
	v_mul_f32_e32 v21, v27, v9
	v_fma_f32 v20, v27, v8, -v20
	v_fmac_f32_e32 v21, v28, v8
	v_add_co_u32_e32 v8, vcc, s4, v14
	v_addc_co_u32_e32 v9, vcc, 0, v15, vcc
	global_load_dwordx2 v[14:15], v[8:9], off offset:368
	ds_write2_b64 v214, v[118:119], v[20:21] offset0:95 offset1:150
	s_mov_b32 s4, 0xbf5ff5aa
	s_waitcnt vmcnt(0)
	v_mul_f32_e32 v20, v101, v15
	v_mul_f32_e32 v117, v100, v15
	v_fma_f32 v116, v100, v14, -v20
	v_fmac_f32_e32 v117, v101, v14
	global_load_dwordx2 v[14:15], v[2:3], off offset:880
	ds_read2_b64 v[98:101], v26 offset0:110 offset1:165
	s_waitcnt vmcnt(0) lgkmcnt(0)
	v_mul_f32_e32 v20, v99, v15
	v_mul_f32_e32 v21, v98, v15
	v_fma_f32 v20, v98, v14, -v20
	v_fmac_f32_e32 v21, v99, v14
	global_load_dwordx2 v[14:15], v[2:3], off offset:3080
	ds_write2_b64 v26, v[210:211], v[20:21] offset0:55 offset1:110
	s_waitcnt vmcnt(0)
	v_mul_f32_e32 v20, v111, v15
	v_mul_f32_e32 v119, v110, v15
	v_fma_f32 v118, v110, v14, -v20
	v_fmac_f32_e32 v119, v111, v14
	global_load_dwordx2 v[14:15], v[6:7], off offset:200
	ds_read2_b64 v[108:111], v16 offset0:148 offset1:203
	s_waitcnt vmcnt(0) lgkmcnt(0)
	v_mul_f32_e32 v20, v109, v15
	v_mul_f32_e32 v21, v108, v15
	v_fma_f32 v20, v108, v14, -v20
	v_fmac_f32_e32 v21, v109, v14
	global_load_dwordx2 v[14:15], v[6:7], off offset:2400
	ds_write2_b64 v16, v[24:25], v[20:21] offset0:93 offset1:148
	;; [unrolled: 14-line block ×7, first 2 shown]
	s_waitcnt vmcnt(0)
	v_mul_f32_e32 v14, v30, v21
	v_mul_f32_e32 v15, v29, v21
	v_fma_f32 v14, v29, v20, -v14
	v_fmac_f32_e32 v15, v30, v20
	global_load_dwordx2 v[20:21], v[2:3], off offset:1760
	s_waitcnt vmcnt(0)
	v_mul_f32_e32 v29, v19, v21
	global_load_dwordx2 v[2:3], v[2:3], off offset:3960
	v_mul_f32_e32 v30, v18, v21
	v_fma_f32 v29, v18, v20, -v29
	v_fmac_f32_e32 v30, v19, v20
	ds_write2_b64 v26, v[27:28], v[29:30] offset0:165 offset1:220
	s_waitcnt vmcnt(0)
	v_mul_f32_e32 v18, v101, v3
	v_mul_f32_e32 v19, v100, v3
	v_fma_f32 v18, v100, v2, -v18
	v_fmac_f32_e32 v19, v101, v2
	v_add_u32_e32 v2, 0xc00, v26
	ds_write2_b64 v2, v[18:19], v[12:13] offset0:111 offset1:166
	global_load_dwordx2 v[12:13], v[6:7], off offset:1080
	s_waitcnt vmcnt(0)
	v_mul_f32_e32 v3, v213, v13
	global_load_dwordx2 v[6:7], v[6:7], off offset:3280
	v_mul_f32_e32 v19, v212, v13
	v_fma_f32 v18, v212, v12, -v3
	v_fmac_f32_e32 v19, v213, v12
	v_add_u32_e32 v3, 0x1400, v26
	ds_write2_b64 v3, v[98:99], v[18:19] offset0:75 offset1:130
	v_mov_b32_e32 v98, v214
	s_waitcnt vmcnt(0)
	v_mul_f32_e32 v3, v111, v7
	v_mul_f32_e32 v13, v110, v7
	v_fma_f32 v12, v110, v6, -v3
	v_fmac_f32_e32 v13, v111, v6
	global_load_dwordx2 v[6:7], v[0:1], off offset:1384
	ds_write2_b64 v241, v[12:13], v[10:11] offset0:21 offset1:76
	global_load_dwordx2 v[0:1], v[0:1], off offset:3584
	s_waitcnt vmcnt(1)
	v_mul_f32_e32 v3, v209, v7
	v_mul_f32_e32 v11, v208, v7
	v_fma_f32 v10, v208, v6, -v3
	v_fmac_f32_e32 v11, v209, v6
	v_add_u32_e32 v3, 0x2400, v26
	ds_write2_b64 v3, v[24:25], v[10:11] offset0:113 offset1:168
	s_waitcnt vmcnt(0)
	v_mul_f32_e32 v3, v23, v1
	v_mul_f32_e32 v7, v22, v1
	v_fma_f32 v6, v22, v0, -v3
	v_fmac_f32_e32 v7, v23, v0
	ds_write2_b64 v97, v[6:7], v[4:5] offset0:59 offset1:114
	global_load_dwordx2 v[3:4], v[8:9], off offset:1688
	ds_read_b64 v[0:1], v26 offset:14960
	s_waitcnt vmcnt(0) lgkmcnt(0)
	v_mul_f32_e32 v5, v1, v4
	v_mul_f32_e32 v6, v0, v4
	v_fma_f32 v5, v0, v3, -v5
	v_fmac_f32_e32 v6, v1, v3
	v_add_u32_e32 v0, 0x3800, v26
	ds_write2_b64 v0, v[14:15], v[5:6] offset0:23 offset1:78
	s_waitcnt lgkmcnt(0)
	; wave barrier
	s_waitcnt lgkmcnt(0)
	ds_read2_b64 v[3:6], v26 offset1:55
	ds_read2_b64 v[7:10], v250 offset0:92 offset1:147
	ds_read2_b64 v[11:14], v16 offset0:38 offset1:93
	;; [unrolled: 1-line block ×13, first 2 shown]
	s_waitcnt lgkmcnt(7)
	v_add_f32_e32 v15, v9, v99
	v_add_f32_e32 v31, v11, v29
	ds_read2_b64 v[229:232], v17 offset0:184 offset1:239
	ds_read2_b64 v[233:236], v233 offset0:94 offset1:149
	;; [unrolled: 1-line block ×3, first 2 shown]
	ds_read_b64 v[0:1], v26 offset:14960
	v_add_f32_e32 v17, v10, v100
	v_sub_f32_e32 v9, v9, v99
	v_add_f32_e32 v99, v12, v30
	v_sub_f32_e32 v11, v11, v29
	;; [unrolled: 2-line block ×5, first 2 shown]
	v_add_f32_e32 v23, v99, v17
	v_add_f32_e32 v22, v29, v22
	v_sub_f32_e32 v10, v10, v100
	v_add_f32_e32 v23, v30, v23
	v_add_f32_e32 v3, v3, v22
	v_sub_f32_e32 v100, v31, v15
	v_sub_f32_e32 v103, v99, v17
	;; [unrolled: 1-line block ×6, first 2 shown]
	v_add_f32_e32 v242, v20, v11
	v_add_f32_e32 v243, v21, v12
	v_sub_f32_e32 v244, v20, v11
	v_sub_f32_e32 v245, v21, v12
	;; [unrolled: 1-line block ×4, first 2 shown]
	v_add_f32_e32 v4, v4, v23
	v_mov_b32_e32 v246, v3
	v_sub_f32_e32 v20, v9, v20
	v_sub_f32_e32 v21, v10, v21
	v_add_f32_e32 v9, v242, v9
	v_add_f32_e32 v10, v243, v10
	v_mul_f32_e32 v15, 0x3f4a47b2, v15
	v_mul_f32_e32 v17, 0x3f4a47b2, v17
	;; [unrolled: 1-line block ×8, first 2 shown]
	v_fmac_f32_e32 v246, 0xbf955555, v22
	v_mov_b32_e32 v22, v4
	v_fmac_f32_e32 v22, 0xbf955555, v23
	v_fma_f32 v23, v100, s6, -v29
	v_fma_f32 v29, v103, s6, -v30
	;; [unrolled: 1-line block ×3, first 2 shown]
	v_fmac_f32_e32 v15, 0x3d64c772, v31
	v_fma_f32 v31, v103, s5, -v17
	v_fmac_f32_e32 v17, 0x3d64c772, v99
	v_fma_f32 v99, v11, s4, -v242
	;; [unrolled: 2-line block ×4, first 2 shown]
	v_fma_f32 v244, v21, s7, -v245
	v_add_f32_e32 v15, v15, v246
	v_add_f32_e32 v17, v17, v22
	;; [unrolled: 1-line block ×6, first 2 shown]
	v_fmac_f32_e32 v242, 0xbee1c552, v9
	v_fmac_f32_e32 v243, 0xbee1c552, v10
	;; [unrolled: 1-line block ×6, first 2 shown]
	v_add_f32_e32 v9, v15, v243
	v_sub_f32_e32 v10, v17, v242
	v_add_f32_e32 v11, v244, v30
	v_sub_f32_e32 v12, v31, v103
	v_sub_f32_e32 v20, v23, v100
	v_add_f32_e32 v21, v99, v29
	v_add_f32_e32 v22, v100, v23
	v_sub_f32_e32 v23, v29, v99
	v_sub_f32_e32 v29, v30, v244
	v_add_f32_e32 v30, v103, v31
	v_sub_f32_e32 v99, v15, v243
	v_add_f32_e32 v100, v242, v17
	s_waitcnt lgkmcnt(10)
	v_add_f32_e32 v15, v108, v101
	v_add_f32_e32 v17, v109, v102
	v_sub_f32_e32 v31, v108, v101
	v_sub_f32_e32 v101, v109, v102
	s_waitcnt lgkmcnt(8)
	v_add_f32_e32 v102, v13, v208
	v_add_f32_e32 v103, v14, v209
	;; [unrolled: 1-line block ×3, first 2 shown]
	v_sub_f32_e32 v24, v24, v116
	v_add_f32_e32 v116, v102, v15
	v_sub_f32_e32 v13, v13, v208
	v_add_f32_e32 v109, v117, v25
	;; [unrolled: 2-line block ×3, first 2 shown]
	v_sub_f32_e32 v208, v102, v15
	v_sub_f32_e32 v15, v15, v108
	;; [unrolled: 1-line block ×3, first 2 shown]
	v_add_f32_e32 v108, v108, v116
	v_sub_f32_e32 v14, v14, v209
	v_sub_f32_e32 v209, v103, v17
	;; [unrolled: 1-line block ×4, first 2 shown]
	v_add_f32_e32 v109, v109, v117
	v_add_f32_e32 v5, v5, v108
	;; [unrolled: 1-line block ×3, first 2 shown]
	v_sub_f32_e32 v245, v25, v14
	v_add_f32_e32 v6, v6, v109
	v_mov_b32_e32 v246, v5
	v_add_f32_e32 v243, v25, v14
	v_sub_f32_e32 v244, v24, v13
	v_sub_f32_e32 v24, v31, v24
	;; [unrolled: 1-line block ×5, first 2 shown]
	v_add_f32_e32 v31, v242, v31
	v_mul_f32_e32 v15, 0x3f4a47b2, v15
	v_mul_f32_e32 v116, 0x3d64c772, v102
	;; [unrolled: 1-line block ×4, first 2 shown]
	v_fmac_f32_e32 v246, 0xbf955555, v108
	v_mov_b32_e32 v108, v6
	v_add_f32_e32 v101, v243, v101
	v_mul_f32_e32 v17, 0x3f4a47b2, v17
	v_mul_f32_e32 v243, 0x3f08b237, v244
	;; [unrolled: 1-line block ×3, first 2 shown]
	v_fmac_f32_e32 v108, 0xbf955555, v109
	v_fma_f32 v109, v208, s6, -v116
	v_fma_f32 v116, v209, s6, -v117
	;; [unrolled: 1-line block ×3, first 2 shown]
	v_fmac_f32_e32 v15, 0x3d64c772, v102
	v_fma_f32 v208, v14, s4, -v242
	v_fmac_f32_e32 v242, 0xbeae86e6, v25
	v_mul_f32_e32 v245, 0xbf5ff5aa, v14
	v_fma_f32 v102, v209, s5, -v17
	v_fmac_f32_e32 v17, 0x3d64c772, v103
	v_fma_f32 v103, v13, s4, -v243
	v_fmac_f32_e32 v243, 0xbeae86e6, v24
	v_fma_f32 v209, v24, s7, -v244
	v_add_f32_e32 v15, v15, v246
	v_fmac_f32_e32 v242, 0xbee1c552, v101
	v_fma_f32 v244, v25, s7, -v245
	v_add_f32_e32 v17, v17, v108
	v_add_f32_e32 v109, v109, v246
	;; [unrolled: 1-line block ×3, first 2 shown]
	v_fmac_f32_e32 v243, 0xbee1c552, v31
	v_fmac_f32_e32 v103, 0xbee1c552, v31
	;; [unrolled: 1-line block ×4, first 2 shown]
	v_add_f32_e32 v13, v15, v242
	v_sub_f32_e32 v242, v15, v242
	s_waitcnt lgkmcnt(4)
	v_add_f32_e32 v15, v110, v225
	v_sub_f32_e32 v31, v110, v225
	v_add_f32_e32 v110, v216, v210
	v_add_f32_e32 v117, v117, v246
	;; [unrolled: 1-line block ×3, first 2 shown]
	v_fmac_f32_e32 v244, 0xbee1c552, v101
	v_sub_f32_e32 v14, v17, v243
	v_sub_f32_e32 v101, v109, v208
	v_add_f32_e32 v102, v103, v116
	v_add_f32_e32 v108, v208, v109
	v_sub_f32_e32 v109, v116, v103
	v_add_f32_e32 v243, v243, v17
	v_add_f32_e32 v17, v111, v226
	v_sub_f32_e32 v103, v111, v226
	v_add_f32_e32 v111, v217, v211
	v_sub_f32_e32 v208, v216, v210
	;; [unrolled: 2-line block ×3, first 2 shown]
	v_add_f32_e32 v216, v110, v15
	v_add_f32_e32 v24, v244, v117
	v_sub_f32_e32 v25, v245, v209
	v_sub_f32_e32 v116, v117, v244
	v_add_f32_e32 v117, v209, v245
	v_sub_f32_e32 v209, v217, v211
	v_add_f32_e32 v211, v119, v222
	;; [unrolled: 2-line block ×3, first 2 shown]
	v_sub_f32_e32 v221, v110, v15
	v_sub_f32_e32 v15, v15, v210
	;; [unrolled: 1-line block ×3, first 2 shown]
	v_add_f32_e32 v110, v118, v208
	v_add_f32_e32 v210, v210, v216
	v_sub_f32_e32 v222, v111, v17
	v_sub_f32_e32 v17, v17, v211
	;; [unrolled: 1-line block ×3, first 2 shown]
	v_add_f32_e32 v111, v119, v209
	v_sub_f32_e32 v244, v118, v208
	v_sub_f32_e32 v245, v119, v209
	;; [unrolled: 1-line block ×4, first 2 shown]
	v_add_f32_e32 v211, v211, v217
	v_add_f32_e32 v31, v110, v31
	;; [unrolled: 1-line block ×3, first 2 shown]
	v_sub_f32_e32 v119, v103, v119
	v_sub_f32_e32 v209, v209, v103
	v_add_f32_e32 v103, v111, v103
	v_add_f32_e32 v111, v213, v211
	v_mul_f32_e32 v246, 0x3f08b237, v244
	v_mul_f32_e32 v244, 0x3f08b237, v245
	v_mov_b32_e32 v245, v110
	v_mul_f32_e32 v15, 0x3f4a47b2, v15
	v_mul_f32_e32 v212, 0x3d64c772, v225
	;; [unrolled: 1-line block ×3, first 2 shown]
	v_fmac_f32_e32 v245, 0xbf955555, v210
	v_mov_b32_e32 v210, v111
	v_mul_f32_e32 v17, 0x3f4a47b2, v17
	v_mul_f32_e32 v216, 0xbf5ff5aa, v208
	;; [unrolled: 1-line block ×3, first 2 shown]
	v_fmac_f32_e32 v210, 0xbf955555, v211
	v_fma_f32 v211, v221, s6, -v212
	v_fma_f32 v212, v222, s6, -v213
	v_fma_f32 v213, v221, s5, -v15
	v_fmac_f32_e32 v15, 0x3d64c772, v225
	v_fma_f32 v208, v208, s4, -v246
	v_fma_f32 v209, v209, s4, -v244
	v_fmac_f32_e32 v244, 0xbeae86e6, v119
	v_fma_f32 v221, v222, s5, -v17
	v_fmac_f32_e32 v17, 0x3d64c772, v226
	v_fmac_f32_e32 v246, 0xbeae86e6, v118
	v_fma_f32 v226, v118, s7, -v216
	v_fma_f32 v225, v119, s7, -v217
	v_add_f32_e32 v15, v15, v245
	v_add_f32_e32 v222, v212, v210
	v_fmac_f32_e32 v244, 0xbee1c552, v103
	v_fmac_f32_e32 v208, 0xbee1c552, v31
	v_add_f32_e32 v17, v17, v210
	v_add_f32_e32 v211, v211, v245
	v_add_f32_e32 v245, v213, v245
	v_add_f32_e32 v210, v221, v210
	v_fmac_f32_e32 v246, 0xbee1c552, v31
	v_fmac_f32_e32 v209, 0xbee1c552, v103
	;; [unrolled: 1-line block ×4, first 2 shown]
	v_add_f32_e32 v118, v15, v244
	v_add_f32_e32 v217, v208, v222
	v_sub_f32_e32 v222, v222, v208
	v_sub_f32_e32 v244, v15, v244
	s_waitcnt lgkmcnt(3)
	v_add_f32_e32 v15, v229, v227
	s_waitcnt lgkmcnt(1)
	v_add_f32_e32 v208, v218, v237
	v_sub_f32_e32 v119, v17, v246
	v_add_f32_e32 v212, v225, v245
	v_sub_f32_e32 v213, v210, v226
	v_sub_f32_e32 v216, v211, v209
	v_add_f32_e32 v221, v209, v211
	v_sub_f32_e32 v225, v245, v225
	v_add_f32_e32 v226, v226, v210
	v_add_f32_e32 v245, v246, v17
	;; [unrolled: 1-line block ×3, first 2 shown]
	v_sub_f32_e32 v31, v229, v227
	v_add_f32_e32 v209, v219, v238
	v_sub_f32_e32 v210, v218, v237
	v_add_f32_e32 v218, v233, v223
	v_add_f32_e32 v227, v208, v15
	v_sub_f32_e32 v103, v230, v228
	v_sub_f32_e32 v211, v219, v238
	v_add_f32_e32 v219, v234, v224
	v_sub_f32_e32 v223, v223, v233
	v_sub_f32_e32 v224, v224, v234
	v_add_f32_e32 v228, v209, v17
	v_sub_f32_e32 v229, v208, v15
	v_sub_f32_e32 v15, v15, v218
	v_sub_f32_e32 v208, v218, v208
	v_add_f32_e32 v218, v218, v227
	v_sub_f32_e32 v230, v209, v17
	v_sub_f32_e32 v17, v17, v219
	;; [unrolled: 1-line block ×5, first 2 shown]
	v_add_f32_e32 v219, v219, v228
	v_add_f32_e32 v214, v214, v218
	;; [unrolled: 1-line block ×3, first 2 shown]
	v_mul_f32_e32 v246, 0x3f08b237, v237
	v_mul_f32_e32 v237, 0x3f08b237, v238
	v_mov_b32_e32 v238, v214
	v_add_f32_e32 v233, v223, v210
	v_add_f32_e32 v234, v224, v211
	v_sub_f32_e32 v224, v103, v224
	v_sub_f32_e32 v210, v210, v31
	;; [unrolled: 1-line block ×3, first 2 shown]
	v_mul_f32_e32 v15, 0x3f4a47b2, v15
	v_mul_f32_e32 v17, 0x3f4a47b2, v17
	;; [unrolled: 1-line block ×4, first 2 shown]
	v_fmac_f32_e32 v238, 0xbf955555, v218
	v_mov_b32_e32 v218, v215
	v_sub_f32_e32 v223, v31, v223
	v_add_f32_e32 v31, v233, v31
	v_add_f32_e32 v103, v234, v103
	v_mul_f32_e32 v233, 0xbf5ff5aa, v210
	v_mul_f32_e32 v234, 0xbf5ff5aa, v211
	v_fmac_f32_e32 v218, 0xbf955555, v219
	v_fma_f32 v219, v229, s6, -v227
	v_fma_f32 v227, v230, s6, -v228
	;; [unrolled: 1-line block ×3, first 2 shown]
	v_fmac_f32_e32 v15, 0x3d64c772, v208
	v_fma_f32 v208, v230, s5, -v17
	v_fmac_f32_e32 v17, 0x3d64c772, v209
	v_fma_f32 v209, v210, s4, -v246
	v_fma_f32 v210, v211, s4, -v237
	v_fmac_f32_e32 v237, 0xbeae86e6, v224
	v_fmac_f32_e32 v246, 0xbeae86e6, v223
	v_fma_f32 v211, v223, s7, -v233
	v_fma_f32 v233, v224, s7, -v234
	v_add_f32_e32 v15, v15, v238
	v_fmac_f32_e32 v237, 0xbee1c552, v103
	v_add_f32_e32 v17, v17, v218
	v_add_f32_e32 v229, v219, v238
	;; [unrolled: 1-line block ×5, first 2 shown]
	v_fmac_f32_e32 v246, 0xbee1c552, v31
	v_fmac_f32_e32 v209, 0xbee1c552, v31
	;; [unrolled: 1-line block ×5, first 2 shown]
	v_add_f32_e32 v218, v15, v237
	v_sub_f32_e32 v237, v15, v237
	s_waitcnt lgkmcnt(0)
	v_add_f32_e32 v15, v231, v0
	v_add_f32_e32 v31, v18, v239
	;; [unrolled: 1-line block ×3, first 2 shown]
	v_sub_f32_e32 v224, v208, v211
	v_sub_f32_e32 v227, v229, v210
	v_add_f32_e32 v229, v210, v229
	v_sub_f32_e32 v233, v234, v233
	v_add_f32_e32 v234, v211, v208
	;; [unrolled: 2-line block ×6, first 2 shown]
	v_add_f32_e32 v17, v232, v1
	v_sub_f32_e32 v0, v231, v0
	v_add_f32_e32 v103, v19, v240
	v_sub_f32_e32 v19, v19, v240
	v_add_f32_e32 v209, v236, v28
	v_sub_f32_e32 v28, v28, v236
	v_sub_f32_e32 v231, v31, v15
	v_sub_f32_e32 v15, v15, v208
	;; [unrolled: 1-line block ×3, first 2 shown]
	v_add_f32_e32 v235, v27, v18
	v_add_f32_e32 v208, v208, v210
	v_sub_f32_e32 v1, v232, v1
	v_add_f32_e32 v211, v103, v17
	v_add_f32_e32 v236, v28, v19
	v_sub_f32_e32 v239, v27, v18
	v_sub_f32_e32 v240, v28, v19
	;; [unrolled: 1-line block ×4, first 2 shown]
	v_add_f32_e32 v210, v235, v0
	v_add_f32_e32 v0, v7, v208
	v_sub_f32_e32 v232, v103, v17
	v_sub_f32_e32 v17, v17, v209
	;; [unrolled: 1-line block ×4, first 2 shown]
	v_add_f32_e32 v209, v209, v211
	v_add_f32_e32 v211, v236, v1
	v_mul_f32_e32 v7, 0x3f4a47b2, v15
	v_mul_f32_e32 v15, 0x3d64c772, v31
	;; [unrolled: 1-line block ×3, first 2 shown]
	v_mov_b32_e32 v246, v0
	v_sub_f32_e32 v28, v1, v28
	v_add_f32_e32 v1, v8, v209
	v_mul_f32_e32 v240, 0xbf5ff5aa, v19
	v_fmac_f32_e32 v246, 0xbf955555, v208
	v_fma_f32 v15, v231, s6, -v15
	v_fma_f32 v19, v19, s4, -v236
	v_mul_f32_e32 v8, 0x3f4a47b2, v17
	v_mul_f32_e32 v235, 0x3f08b237, v239
	v_mul_f32_e32 v239, 0xbf5ff5aa, v18
	v_mov_b32_e32 v208, v1
	v_add_f32_e32 v15, v15, v246
	v_fmac_f32_e32 v19, 0xbee1c552, v211
	v_mul_f32_e32 v17, 0x3d64c772, v103
	v_fmac_f32_e32 v208, 0xbf955555, v209
	v_fma_f32 v209, v231, s5, -v7
	v_fmac_f32_e32 v7, 0x3d64c772, v31
	v_fma_f32 v31, v232, s5, -v8
	;; [unrolled: 2-line block ×4, first 2 shown]
	v_sub_f32_e32 v27, v15, v19
	v_add_f32_e32 v231, v19, v15
	s_waitcnt lgkmcnt(0)
	; wave barrier
	buffer_load_dword v15, off, s[20:23], 0 offset:372 ; 4-byte Folded Reload
	s_waitcnt vmcnt(0)
	ds_write2_b64 v15, v[3:4], v[9:10] offset1:1
	ds_write2_b64 v15, v[11:12], v[20:21] offset0:2 offset1:3
	ds_write2_b64 v15, v[22:23], v[29:30] offset0:4 offset1:5
	ds_write_b64 v15, v[99:100] offset:48
	buffer_load_dword v3, off, s[20:23], 0 offset:376 ; 4-byte Folded Reload
	s_waitcnt vmcnt(0)
	ds_write2_b64 v3, v[5:6], v[13:14] offset1:1
	ds_write2_b64 v3, v[24:25], v[101:102] offset0:2 offset1:3
	ds_write2_b64 v3, v[108:109], v[116:117] offset0:4 offset1:5
	ds_write_b64 v3, v[242:243] offset:48
	;; [unrolled: 6-line block ×4, first 2 shown]
	buffer_load_dword v3, off, s[20:23], 0 offset:388 ; 4-byte Folded Reload
	v_fma_f32 v17, v232, s6, -v17
	v_fmac_f32_e32 v236, 0xbeae86e6, v28
	v_fma_f32 v240, v28, s7, -v240
	v_add_f32_e32 v247, v7, v246
	v_add_f32_e32 v248, v8, v208
	;; [unrolled: 1-line block ×5, first 2 shown]
	v_fmac_f32_e32 v235, 0xbee1c552, v210
	v_fmac_f32_e32 v236, 0xbee1c552, v211
	v_fmac_f32_e32 v103, 0xbee1c552, v210
	v_fmac_f32_e32 v239, 0xbee1c552, v210
	v_fmac_f32_e32 v240, 0xbee1c552, v211
	v_add_f32_e32 v7, v247, v236
	v_sub_f32_e32 v8, v248, v235
	v_add_f32_e32 v17, v240, v209
	v_sub_f32_e32 v18, v31, v239
	;; [unrolled: 2-line block ×3, first 2 shown]
	v_sub_f32_e32 v208, v209, v240
	v_add_f32_e32 v209, v239, v31
	v_sub_f32_e32 v210, v247, v236
	v_add_f32_e32 v211, v235, v248
	v_mov_b32_e32 v21, v250
	v_mov_b32_e32 v20, v16
	;; [unrolled: 1-line block ×3, first 2 shown]
	s_waitcnt vmcnt(0)
	ds_write2_b64 v3, v[0:1], v[7:8] offset1:1
	ds_write2_b64 v3, v[17:18], v[27:28] offset0:2 offset1:3
	ds_write2_b64 v3, v[231:232], v[208:209] offset0:4 offset1:5
	ds_write_b64 v3, v[210:211] offset:48
	s_waitcnt lgkmcnt(0)
	; wave barrier
	s_waitcnt lgkmcnt(0)
	ds_read2_b64 v[216:219], v26 offset1:55
	ds_read2_b64 v[212:215], v26 offset0:110 offset1:175
	ds_read2_b64 v[16:19], v251 offset0:94 offset1:149
	;; [unrolled: 1-line block ×13, first 2 shown]
	ds_read2_b64 v[240:243], v98 offset1:55
	ds_read2_b64 v[236:239], v97 offset0:94 offset1:149
	ds_read_b64 v[96:97], v26 offset:14880
	s_and_saveexec_b64 s[4:5], s[0:1]
	s_cbranch_execz .LBB0_7
; %bb.6:
	ds_read2_b64 v[208:211], v21 offset0:37 offset1:212
	ds_read2_b64 v[20:23], v20 offset0:3 offset1:178
	s_waitcnt lgkmcnt(0)
	buffer_store_dword v20, off, s[20:23], 0 ; 4-byte Folded Spill
	s_nop 0
	buffer_store_dword v21, off, s[20:23], 0 offset:4 ; 4-byte Folded Spill
	buffer_store_dword v22, off, s[20:23], 0 offset:8 ; 4-byte Folded Spill
	;; [unrolled: 1-line block ×3, first 2 shown]
	v_add_u32_e32 v20, 0x1a00, v26
	ds_read2_b64 v[20:23], v20 offset0:33 offset1:208
	s_waitcnt lgkmcnt(0)
	buffer_store_dword v20, off, s[20:23], 0 offset:16 ; 4-byte Folded Spill
	s_nop 0
	buffer_store_dword v21, off, s[20:23], 0 offset:20 ; 4-byte Folded Spill
	buffer_store_dword v22, off, s[20:23], 0 offset:24 ; 4-byte Folded Spill
	;; [unrolled: 1-line block ×3, first 2 shown]
	v_add_u32_e32 v20, 0x2400, v26
	ds_read2_b64 v[20:23], v20 offset0:63 offset1:238
	s_waitcnt lgkmcnt(0)
	buffer_store_dword v20, off, s[20:23], 0 offset:32 ; 4-byte Folded Spill
	s_nop 0
	buffer_store_dword v21, off, s[20:23], 0 offset:36 ; 4-byte Folded Spill
	buffer_store_dword v22, off, s[20:23], 0 offset:40 ; 4-byte Folded Spill
	;; [unrolled: 1-line block ×3, first 2 shown]
	ds_read2_b64 v[20:23], v24 offset0:29 offset1:204
	s_waitcnt lgkmcnt(0)
	buffer_store_dword v20, off, s[20:23], 0 offset:48 ; 4-byte Folded Spill
	s_nop 0
	buffer_store_dword v21, off, s[20:23], 0 offset:52 ; 4-byte Folded Spill
	buffer_store_dword v22, off, s[20:23], 0 offset:56 ; 4-byte Folded Spill
	buffer_store_dword v23, off, s[20:23], 0 offset:60 ; 4-byte Folded Spill
	ds_read_b64 v[20:21], v26 offset:15320
	s_waitcnt lgkmcnt(0)
	buffer_store_dword v20, off, s[20:23], 0 offset:64 ; 4-byte Folded Spill
	s_nop 0
	buffer_store_dword v21, off, s[20:23], 0 offset:68 ; 4-byte Folded Spill
.LBB0_7:
	s_or_b64 exec, exec, s[4:5]
	buffer_load_dword v22, off, s[20:23], 0 offset:408 ; 4-byte Folded Reload
	buffer_load_dword v23, off, s[20:23], 0 offset:412 ; 4-byte Folded Reload
	;; [unrolled: 1-line block ×8, first 2 shown]
	s_waitcnt lgkmcnt(6)
	v_mul_f32_e32 v116, v47, v1
	v_fmac_f32_e32 v116, v46, v0
	v_mul_f32_e32 v0, v47, v0
	v_fma_f32 v117, v46, v1, -v0
	s_waitcnt lgkmcnt(5)
	v_mul_f32_e32 v0, v41, v252
	v_fma_f32 v119, v40, v253, -v0
	v_mul_f32_e32 v0, v43, v18
	v_mul_f32_e32 v108, v51, v9
	v_fma_f32 v101, v42, v19, -v0
	s_waitcnt lgkmcnt(4)
	v_mul_f32_e32 v0, v33, v248
	v_fmac_f32_e32 v108, v50, v8
	v_mul_f32_e32 v8, v51, v8
	v_fma_f32 v99, v32, v249, -v0
	v_mul_f32_e32 v0, v35, v14
	v_fma_f32 v8, v50, v9, -v8
	v_fma_f32 v50, v34, v15, -v0
	s_waitcnt lgkmcnt(2)
	v_mul_f32_e32 v51, v77, v241
	v_fmac_f32_e32 v51, v76, v240
	v_mul_f32_e32 v110, v39, v5
	v_mul_f32_e32 v100, v43, v19
	v_fmac_f32_e32 v110, v38, v4
	v_mul_f32_e32 v4, v39, v4
	v_mul_f32_e32 v98, v33, v249
	;; [unrolled: 1-line block ×4, first 2 shown]
	v_fma_f32 v4, v38, v5, -v4
	v_mul_f32_e32 v5, v45, v223
	v_fmac_f32_e32 v98, v32, v248
	v_mul_f32_e32 v32, v53, v243
	v_fmac_f32_e32 v9, v36, v226
	v_fmac_f32_e32 v100, v42, v18
	;; [unrolled: 1-line block ×3, first 2 shown]
	s_mov_b32 s6, 0x3f575c64
	s_mov_b32 s7, 0x3ed4b147
	;; [unrolled: 1-line block ×5, first 2 shown]
	v_fmac_f32_e32 v5, v44, v222
	v_fmac_f32_e32 v118, v40, v252
	v_mul_f32_e32 v42, v65, v255
	v_fmac_f32_e32 v42, v64, v254
	v_mul_f32_e32 v38, v67, v233
	v_fmac_f32_e32 v38, v66, v232
	s_waitcnt lgkmcnt(1)
	v_mul_f32_e32 v40, v73, v239
	v_fmac_f32_e32 v40, v72, v238
	s_waitcnt vmcnt(6)
	v_mul_f32_e32 v20, v23, v215
	v_mul_f32_e32 v21, v23, v214
	v_fmac_f32_e32 v20, v22, v214
	v_fma_f32 v21, v22, v215, -v21
	s_waitcnt vmcnt(4)
	v_mul_f32_e32 v22, v25, v17
	v_fmac_f32_e32 v22, v24, v16
	v_mul_f32_e32 v16, v25, v16
	s_waitcnt vmcnt(0)
	v_mul_f32_e32 v102, v30, v13
	v_fma_f32 v16, v24, v17, -v16
	v_mul_f32_e32 v17, v28, v235
	v_mul_f32_e32 v23, v28, v234
	v_fmac_f32_e32 v102, v29, v12
	v_mul_f32_e32 v12, v30, v12
	v_fmac_f32_e32 v17, v27, v234
	v_fma_f32 v23, v27, v235, -v23
	v_fma_f32 v12, v29, v13, -v12
	buffer_load_dword v27, off, s[20:23], 0 offset:424 ; 4-byte Folded Reload
	buffer_load_dword v28, off, s[20:23], 0 offset:428 ; 4-byte Folded Reload
	;; [unrolled: 1-line block ×4, first 2 shown]
	v_mul_f32_e32 v13, v49, v231
	v_mul_f32_e32 v24, v49, v230
	v_fma_f32 v103, v48, v231, -v24
	v_mul_f32_e32 v24, v37, v226
	v_fma_f32 v109, v36, v227, -v24
	;; [unrolled: 2-line block ×3, first 2 shown]
	v_mul_f32_e32 v24, v35, v15
	v_fmac_f32_e32 v13, v48, v230
	v_mul_f32_e32 v25, v57, v247
	v_fmac_f32_e32 v24, v34, v14
	;; [unrolled: 2-line block ×4, first 2 shown]
	v_fmac_f32_e32 v36, v54, v220
	v_add_f32_e32 v1, v217, v21
	v_add_f32_e32 v1, v1, v16
	;; [unrolled: 1-line block ×8, first 2 shown]
	s_waitcnt lgkmcnt(0)
	v_mul_f32_e32 v44, v75, v97
	v_fmac_f32_e32 v44, v74, v96
	s_waitcnt lgkmcnt(0)
	; wave barrier
	v_add_f32_e32 v1, v1, v111
	v_add_f32_e32 v1, v1, v117
	s_waitcnt vmcnt(2)
	v_mul_f32_e32 v0, v28, v244
	v_fma_f32 v47, v27, v245, -v0
	s_waitcnt vmcnt(0)
	v_mul_f32_e32 v0, v30, v10
	v_fma_f32 v49, v29, v11, -v0
	v_mul_f32_e32 v0, v77, v240
	v_fma_f32 v76, v76, v241, -v0
	v_mul_f32_e32 v77, v79, v7
	v_mul_f32_e32 v0, v79, v6
	v_fmac_f32_e32 v77, v78, v6
	v_fma_f32 v78, v78, v7, -v0
	v_mul_f32_e32 v79, v69, v237
	v_mul_f32_e32 v0, v69, v236
	v_fmac_f32_e32 v79, v68, v236
	;; [unrolled: 4-line block ×3, first 2 shown]
	v_fma_f32 v70, v70, v3, -v0
	v_mul_f32_e32 v0, v65, v254
	v_fma_f32 v43, v64, v255, -v0
	v_mul_f32_e32 v0, v67, v232
	;; [unrolled: 2-line block ×4, first 2 shown]
	v_mul_f32_e32 v46, v28, v245
	v_fma_f32 v31, v62, v229, -v0
	v_mul_f32_e32 v0, v57, v246
	v_fmac_f32_e32 v46, v27, v244
	v_mul_f32_e32 v48, v30, v11
	v_fma_f32 v27, v56, v247, -v0
	v_mul_f32_e32 v0, v59, v224
	v_fmac_f32_e32 v48, v29, v10
	v_fma_f32 v29, v58, v225, -v0
	v_mul_f32_e32 v0, v53, v242
	v_fma_f32 v33, v52, v243, -v0
	v_mul_f32_e32 v0, v55, v220
	;; [unrolled: 2-line block ×4, first 2 shown]
	v_fma_f32 v45, v74, v97, -v0
	v_add_f32_e32 v0, v216, v20
	v_add_f32_e32 v0, v0, v22
	;; [unrolled: 1-line block ×5, first 2 shown]
	v_sub_f32_e32 v7, v21, v117
	v_mul_f32_e32 v28, v59, v225
	v_add_f32_e32 v0, v0, v108
	v_add_f32_e32 v3, v21, v117
	v_mul_f32_e32 v10, 0xbf0a6770, v7
	v_mul_f32_e32 v18, 0xbf68dda4, v7
	;; [unrolled: 1-line block ×5, first 2 shown]
	v_fmac_f32_e32 v28, v58, v224
	v_add_f32_e32 v0, v0, v9
	v_add_f32_e32 v2, v20, v116
	v_sub_f32_e32 v6, v20, v116
	v_mov_b32_e32 v11, v10
	v_mul_f32_e32 v14, 0x3f575c64, v3
	v_mov_b32_e32 v19, v18
	v_mul_f32_e32 v20, 0x3ed4b147, v3
	;; [unrolled: 2-line block ×5, first 2 shown]
	v_add_f32_e32 v0, v0, v110
	v_fmac_f32_e32 v11, 0x3f575c64, v2
	v_mov_b32_e32 v15, v14
	v_fma_f32 v10, v2, s6, -v10
	v_fmac_f32_e32 v19, 0x3ed4b147, v2
	v_mov_b32_e32 v21, v20
	v_fma_f32 v18, v2, s7, -v18
	;; [unrolled: 3-line block ×5, first 2 shown]
	v_add_f32_e32 v7, v16, v111
	v_sub_f32_e32 v16, v16, v111
	v_mul_f32_e32 v30, v63, v229
	v_add_f32_e32 v0, v0, v5
	v_fmac_f32_e32 v15, 0x3f0a6770, v6
	v_fmac_f32_e32 v14, 0xbf0a6770, v6
	;; [unrolled: 1-line block ×10, first 2 shown]
	v_add_f32_e32 v6, v22, v5
	v_sub_f32_e32 v5, v22, v5
	v_mul_f32_e32 v22, 0xbf68dda4, v16
	v_fmac_f32_e32 v30, v62, v228
	v_mov_b32_e32 v62, v22
	v_add_f32_e32 v11, v216, v11
	v_fmac_f32_e32 v62, 0x3ed4b147, v6
	v_add_f32_e32 v10, v216, v10
	v_add_f32_e32 v11, v62, v11
	v_mul_f32_e32 v62, 0x3ed4b147, v7
	v_fma_f32 v22, v6, s7, -v22
	v_add_f32_e32 v14, v217, v14
	v_mov_b32_e32 v63, v62
	v_add_f32_e32 v10, v22, v10
	v_fmac_f32_e32 v62, 0xbf68dda4, v5
	v_mul_f32_e32 v22, 0xbf4178ce, v16
	v_add_f32_e32 v14, v62, v14
	v_mov_b32_e32 v62, v22
	v_add_f32_e32 v19, v216, v19
	v_fmac_f32_e32 v62, 0xbf27a4f4, v6
	v_add_f32_e32 v15, v217, v15
	v_add_f32_e32 v18, v216, v18
	v_fmac_f32_e32 v63, 0x3f68dda4, v5
	v_add_f32_e32 v19, v62, v19
	v_mul_f32_e32 v62, 0xbf27a4f4, v7
	v_fma_f32 v22, v6, s13, -v22
	v_add_f32_e32 v20, v217, v20
	v_add_f32_e32 v15, v63, v15
	v_mov_b32_e32 v63, v62
	v_add_f32_e32 v18, v22, v18
	v_fmac_f32_e32 v62, 0xbf4178ce, v5
	v_mul_f32_e32 v22, 0x3e903f40, v16
	v_add_f32_e32 v20, v62, v20
	v_mov_b32_e32 v62, v22
	v_add_f32_e32 v53, v216, v53
	v_fmac_f32_e32 v62, 0xbf75a155, v6
	v_add_f32_e32 v21, v217, v21
	v_fmac_f32_e32 v63, 0x3f4178ce, v5
	v_add_f32_e32 v53, v62, v53
	v_mul_f32_e32 v62, 0xbf75a155, v7
	v_add_f32_e32 v52, v216, v52
	v_add_f32_e32 v54, v217, v54
	v_add_f32_e32 v21, v63, v21
	v_mov_b32_e32 v63, v62
	v_fma_f32 v22, v6, s14, -v22
	v_fmac_f32_e32 v62, 0x3e903f40, v5
	v_add_f32_e32 v22, v22, v52
	v_add_f32_e32 v52, v62, v54
	v_mul_f32_e32 v54, 0x3f7d64f0, v16
	v_mov_b32_e32 v62, v54
	v_add_f32_e32 v57, v216, v57
	v_fmac_f32_e32 v62, 0xbe11bafb, v6
	v_add_f32_e32 v55, v217, v55
	v_fmac_f32_e32 v63, 0xbe903f40, v5
	v_add_f32_e32 v57, v62, v57
	v_mul_f32_e32 v62, 0xbe11bafb, v7
	v_add_f32_e32 v56, v216, v56
	v_add_f32_e32 v58, v217, v58
	;; [unrolled: 1-line block ×3, first 2 shown]
	v_mov_b32_e32 v63, v62
	v_fma_f32 v54, v6, s12, -v54
	v_fmac_f32_e32 v62, 0x3f7d64f0, v5
	v_mul_f32_e32 v16, 0x3f0a6770, v16
	v_add_f32_e32 v54, v54, v56
	v_add_f32_e32 v56, v62, v58
	v_mov_b32_e32 v58, v16
	v_add_f32_e32 v2, v216, v2
	v_fmac_f32_e32 v58, 0x3f575c64, v6
	v_fma_f32 v6, v6, s6, -v16
	v_add_f32_e32 v60, v216, v60
	v_mul_f32_e32 v7, 0x3f575c64, v7
	v_add_f32_e32 v2, v6, v2
	v_add_f32_e32 v6, v23, v4
	v_sub_f32_e32 v4, v23, v4
	v_add_f32_e32 v3, v217, v3
	v_add_f32_e32 v58, v58, v60
	v_mov_b32_e32 v60, v7
	v_fmac_f32_e32 v7, 0x3f0a6770, v5
	v_mul_f32_e32 v16, 0xbf7d64f0, v4
	v_fmac_f32_e32 v63, 0xbf7d64f0, v5
	v_fmac_f32_e32 v60, 0xbf0a6770, v5
	v_add_f32_e32 v3, v7, v3
	v_add_f32_e32 v5, v17, v110
	v_sub_f32_e32 v7, v17, v110
	v_mov_b32_e32 v17, v16
	v_fmac_f32_e32 v17, 0xbe11bafb, v5
	v_add_f32_e32 v11, v17, v11
	v_mul_f32_e32 v17, 0xbe11bafb, v6
	v_fma_f32 v16, v5, s12, -v16
	v_mov_b32_e32 v23, v17
	v_add_f32_e32 v10, v16, v10
	v_fmac_f32_e32 v17, 0xbf7d64f0, v7
	v_mul_f32_e32 v16, 0x3e903f40, v4
	v_add_f32_e32 v14, v17, v14
	v_mov_b32_e32 v17, v16
	v_fmac_f32_e32 v17, 0xbf75a155, v5
	v_fmac_f32_e32 v23, 0x3f7d64f0, v7
	v_add_f32_e32 v17, v17, v19
	v_mul_f32_e32 v19, 0xbf75a155, v6
	v_add_f32_e32 v15, v23, v15
	v_mov_b32_e32 v23, v19
	v_fma_f32 v16, v5, s14, -v16
	v_fmac_f32_e32 v19, 0x3e903f40, v7
	v_add_f32_e32 v16, v16, v18
	v_add_f32_e32 v18, v19, v20
	v_mul_f32_e32 v19, 0x3f68dda4, v4
	v_fmac_f32_e32 v23, 0xbe903f40, v7
	v_mov_b32_e32 v20, v19
	v_add_f32_e32 v21, v23, v21
	v_fmac_f32_e32 v20, 0x3ed4b147, v5
	v_mul_f32_e32 v23, 0x3ed4b147, v6
	v_add_f32_e32 v20, v20, v53
	v_mov_b32_e32 v53, v23
	v_fma_f32 v19, v5, s7, -v19
	v_fmac_f32_e32 v23, 0x3f68dda4, v7
	v_add_f32_e32 v19, v19, v22
	v_add_f32_e32 v22, v23, v52
	v_mul_f32_e32 v23, 0xbf0a6770, v4
	v_fmac_f32_e32 v53, 0xbf68dda4, v7
	v_mov_b32_e32 v52, v23
	v_add_f32_e32 v53, v53, v55
	v_fmac_f32_e32 v52, 0x3f575c64, v5
	v_mul_f32_e32 v55, 0x3f575c64, v6
	v_add_f32_e32 v52, v52, v57
	v_mov_b32_e32 v57, v55
	v_fma_f32 v23, v5, s6, -v23
	v_fmac_f32_e32 v55, 0xbf0a6770, v7
	v_mul_f32_e32 v6, 0xbf27a4f4, v6
	v_add_f32_e32 v23, v23, v54
	v_add_f32_e32 v54, v55, v56
	v_mul_f32_e32 v4, 0xbf4178ce, v4
	v_mov_b32_e32 v56, v6
	v_fmac_f32_e32 v57, 0x3f0a6770, v7
	v_mov_b32_e32 v55, v4
	v_fmac_f32_e32 v56, 0x3f4178ce, v7
	v_fma_f32 v4, v5, s13, -v4
	v_fmac_f32_e32 v6, 0xbf4178ce, v7
	v_sub_f32_e32 v7, v12, v109
	v_add_f32_e32 v2, v4, v2
	v_add_f32_e32 v3, v6, v3
	v_add_f32_e32 v4, v102, v9
	v_sub_f32_e32 v6, v102, v9
	v_mul_f32_e32 v9, 0xbf4178ce, v7
	v_fmac_f32_e32 v55, 0xbf27a4f4, v5
	v_add_f32_e32 v5, v12, v109
	v_mov_b32_e32 v12, v9
	v_fmac_f32_e32 v12, 0xbf27a4f4, v4
	v_add_f32_e32 v11, v12, v11
	v_mul_f32_e32 v12, 0xbf27a4f4, v5
	v_add_f32_e32 v55, v55, v58
	v_mov_b32_e32 v58, v12
	v_fma_f32 v9, v4, s13, -v9
	v_fmac_f32_e32 v12, 0xbf4178ce, v6
	v_add_f32_e32 v9, v9, v10
	v_add_f32_e32 v10, v12, v14
	v_mul_f32_e32 v12, 0x3f7d64f0, v7
	v_mov_b32_e32 v14, v12
	v_fmac_f32_e32 v14, 0xbe11bafb, v4
	v_fmac_f32_e32 v58, 0x3f4178ce, v6
	v_add_f32_e32 v14, v14, v17
	v_mul_f32_e32 v17, 0xbe11bafb, v5
	v_add_f32_e32 v15, v58, v15
	v_mov_b32_e32 v58, v17
	v_fma_f32 v12, v4, s12, -v12
	v_fmac_f32_e32 v17, 0x3f7d64f0, v6
	v_add_f32_e32 v12, v12, v16
	v_add_f32_e32 v16, v17, v18
	v_mul_f32_e32 v17, 0xbf0a6770, v7
	v_mov_b32_e32 v18, v17
	v_fmac_f32_e32 v18, 0x3f575c64, v4
	;; [unrolled: 12-line block ×3, first 2 shown]
	v_fmac_f32_e32 v58, 0x3f0a6770, v6
	v_add_f32_e32 v22, v22, v52
	v_mul_f32_e32 v52, 0xbf75a155, v5
	v_add_f32_e32 v53, v58, v53
	v_mov_b32_e32 v58, v52
	v_fma_f32 v20, v4, s14, -v20
	v_fmac_f32_e32 v52, 0xbe903f40, v6
	v_mul_f32_e32 v7, 0x3f68dda4, v7
	v_add_f32_e32 v59, v217, v59
	v_add_f32_e32 v61, v217, v61
	;; [unrolled: 1-line block ×4, first 2 shown]
	v_mov_b32_e32 v52, v7
	v_mul_f32_e32 v5, 0x3ed4b147, v5
	v_add_f32_e32 v59, v63, v59
	v_add_f32_e32 v60, v60, v61
	v_fmac_f32_e32 v52, 0x3ed4b147, v4
	v_mov_b32_e32 v54, v5
	v_fma_f32 v4, v4, s7, -v7
	v_sub_f32_e32 v61, v103, v8
	v_add_f32_e32 v57, v57, v59
	v_add_f32_e32 v56, v56, v60
	v_fmac_f32_e32 v58, 0x3e903f40, v6
	v_add_f32_e32 v52, v52, v55
	v_fmac_f32_e32 v54, 0xbf68dda4, v6
	;; [unrolled: 2-line block ×3, first 2 shown]
	v_mul_f32_e32 v2, 0xbe903f40, v61
	v_add_f32_e32 v57, v58, v57
	v_add_f32_e32 v54, v54, v56
	;; [unrolled: 1-line block ×4, first 2 shown]
	v_mov_b32_e32 v3, v2
	v_add_f32_e32 v59, v103, v8
	v_fmac_f32_e32 v3, 0xbf75a155, v58
	v_add_f32_e32 v6, v3, v11
	v_mul_f32_e32 v3, 0xbf75a155, v59
	v_sub_f32_e32 v60, v13, v108
	v_mov_b32_e32 v4, v3
	v_fmac_f32_e32 v4, 0x3e903f40, v60
	v_add_f32_e32 v7, v4, v15
	v_mul_f32_e32 v4, 0x3f0a6770, v61
	v_mov_b32_e32 v5, v4
	v_fmac_f32_e32 v5, 0x3f575c64, v58
	v_fma_f32 v2, v58, s14, -v2
	v_add_f32_e32 v8, v5, v14
	v_mul_f32_e32 v5, 0x3f575c64, v59
	v_add_f32_e32 v2, v2, v9
	v_fmac_f32_e32 v3, 0xbe903f40, v60
	v_mov_b32_e32 v9, v5
	v_fmac_f32_e32 v5, 0x3f0a6770, v60
	v_add_f32_e32 v3, v3, v10
	v_add_f32_e32 v5, v5, v16
	v_mul_f32_e32 v10, 0xbf4178ce, v61
	v_mul_f32_e32 v16, 0x3f68dda4, v61
	v_mov_b32_e32 v11, v10
	v_fma_f32 v10, v58, s13, -v10
	v_mov_b32_e32 v14, v16
	v_add_f32_e32 v10, v10, v17
	v_fmac_f32_e32 v14, 0x3ed4b147, v58
	v_mul_f32_e32 v17, 0x3ed4b147, v59
	v_add_f32_e32 v14, v14, v22
	v_mov_b32_e32 v15, v17
	v_fmac_f32_e32 v17, 0x3f68dda4, v60
	v_add_f32_e32 v22, v218, v118
	v_add_f32_e32 v17, v17, v23
	;; [unrolled: 1-line block ×8, first 2 shown]
	v_fma_f32 v4, v58, s6, -v4
	v_fmac_f32_e32 v11, 0xbf27a4f4, v58
	v_add_f32_e32 v23, v23, v50
	v_add_f32_e32 v22, v22, v46
	v_fmac_f32_e32 v9, 0xbf0a6770, v60
	v_add_f32_e32 v4, v4, v12
	v_add_f32_e32 v12, v11, v18
	v_mul_f32_e32 v11, 0xbf27a4f4, v59
	v_fma_f32 v16, v58, s7, -v16
	v_add_f32_e32 v23, v23, v47
	v_add_f32_e32 v22, v22, v48
	;; [unrolled: 1-line block ×3, first 2 shown]
	v_mov_b32_e32 v13, v11
	v_fmac_f32_e32 v11, 0xbf4178ce, v60
	v_add_f32_e32 v16, v16, v20
	v_mul_f32_e32 v20, 0xbf7d64f0, v61
	v_mul_f32_e32 v21, 0xbe11bafb, v59
	v_add_f32_e32 v23, v23, v49
	v_add_f32_e32 v22, v22, v51
	;; [unrolled: 1-line block ×3, first 2 shown]
	v_mov_b32_e32 v18, v20
	v_mov_b32_e32 v19, v21
	v_fma_f32 v20, v58, s12, -v20
	v_add_f32_e32 v23, v23, v76
	v_add_f32_e32 v22, v22, v77
	v_fmac_f32_e32 v13, 0x3f4178ce, v60
	v_fmac_f32_e32 v18, 0xbe11bafb, v58
	;; [unrolled: 1-line block ×3, first 2 shown]
	v_add_f32_e32 v20, v20, v55
	v_fmac_f32_e32 v21, 0xbf7d64f0, v60
	v_add_f32_e32 v23, v23, v78
	v_add_f32_e32 v22, v22, v79
	v_sub_f32_e32 v55, v119, v70
	v_add_f32_e32 v13, v13, v53
	v_fmac_f32_e32 v15, 0xbf68dda4, v60
	v_add_f32_e32 v18, v18, v52
	v_add_f32_e32 v19, v19, v54
	;; [unrolled: 1-line block ×7, first 2 shown]
	v_sub_f32_e32 v54, v118, v69
	v_mul_f32_e32 v56, 0xbf0a6770, v55
	v_mul_f32_e32 v60, 0xbf68dda4, v55
	v_mul_f32_e32 v64, 0xbf7d64f0, v55
	v_mul_f32_e32 v69, 0xbf4178ce, v55
	v_mul_f32_e32 v55, 0xbe903f40, v55
	v_add_f32_e32 v15, v15, v57
	v_add_f32_e32 v23, v23, v70
	v_mov_b32_e32 v57, v56
	v_mul_f32_e32 v58, 0x3f575c64, v53
	v_mov_b32_e32 v61, v60
	v_mul_f32_e32 v62, 0x3ed4b147, v53
	;; [unrolled: 2-line block ×5, first 2 shown]
	v_fmac_f32_e32 v57, 0x3f575c64, v52
	v_mov_b32_e32 v59, v58
	v_fma_f32 v56, v52, s6, -v56
	v_fmac_f32_e32 v61, 0x3ed4b147, v52
	v_mov_b32_e32 v63, v62
	v_fma_f32 v60, v52, s7, -v60
	;; [unrolled: 3-line block ×5, first 2 shown]
	v_add_f32_e32 v55, v101, v68
	v_sub_f32_e32 v68, v101, v68
	v_fmac_f32_e32 v59, 0x3f0a6770, v54
	v_fmac_f32_e32 v58, 0xbf0a6770, v54
	;; [unrolled: 1-line block ×10, first 2 shown]
	v_add_f32_e32 v54, v100, v79
	v_sub_f32_e32 v75, v100, v79
	v_mul_f32_e32 v79, 0xbf68dda4, v68
	v_mov_b32_e32 v96, v79
	v_add_f32_e32 v57, v218, v57
	v_fmac_f32_e32 v96, 0x3ed4b147, v54
	v_add_f32_e32 v56, v218, v56
	v_add_f32_e32 v57, v96, v57
	v_mul_f32_e32 v96, 0x3ed4b147, v55
	v_fma_f32 v79, v54, s7, -v79
	v_add_f32_e32 v58, v219, v58
	v_mov_b32_e32 v97, v96
	v_add_f32_e32 v56, v79, v56
	v_fmac_f32_e32 v96, 0xbf68dda4, v75
	v_mul_f32_e32 v79, 0xbf4178ce, v68
	v_add_f32_e32 v58, v96, v58
	v_mov_b32_e32 v96, v79
	v_add_f32_e32 v61, v218, v61
	v_fmac_f32_e32 v96, 0xbf27a4f4, v54
	v_add_f32_e32 v59, v219, v59
	v_add_f32_e32 v60, v218, v60
	v_fmac_f32_e32 v97, 0x3f68dda4, v75
	v_add_f32_e32 v61, v96, v61
	v_mul_f32_e32 v96, 0xbf27a4f4, v55
	v_fma_f32 v79, v54, s13, -v79
	v_add_f32_e32 v62, v219, v62
	v_add_f32_e32 v59, v97, v59
	v_mov_b32_e32 v97, v96
	v_add_f32_e32 v60, v79, v60
	v_fmac_f32_e32 v96, 0xbf4178ce, v75
	v_mul_f32_e32 v79, 0x3e903f40, v68
	v_add_f32_e32 v62, v96, v62
	v_mov_b32_e32 v96, v79
	v_add_f32_e32 v65, v218, v65
	v_fmac_f32_e32 v96, 0xbf75a155, v54
	v_add_f32_e32 v63, v219, v63
	v_add_f32_e32 v64, v218, v64
	v_fmac_f32_e32 v97, 0x3f4178ce, v75
	v_add_f32_e32 v65, v96, v65
	v_mul_f32_e32 v96, 0xbf75a155, v55
	v_fma_f32 v79, v54, s14, -v79
	v_add_f32_e32 v66, v219, v66
	v_add_f32_e32 v63, v97, v63
	v_mov_b32_e32 v97, v96
	v_add_f32_e32 v64, v79, v64
	v_fmac_f32_e32 v96, 0x3e903f40, v75
	v_mul_f32_e32 v79, 0x3f7d64f0, v68
	v_add_f32_e32 v69, v218, v69
	v_add_f32_e32 v66, v96, v66
	v_mov_b32_e32 v96, v79
	v_fma_f32 v79, v54, s12, -v79
	v_mul_f32_e32 v68, 0x3f0a6770, v68
	v_add_f32_e32 v70, v218, v70
	v_fmac_f32_e32 v96, 0xbe11bafb, v54
	v_add_f32_e32 v69, v79, v69
	v_mov_b32_e32 v79, v68
	v_add_f32_e32 v67, v219, v67
	v_add_f32_e32 v73, v218, v73
	v_fmac_f32_e32 v97, 0xbe903f40, v75
	v_add_f32_e32 v70, v96, v70
	v_mul_f32_e32 v96, 0xbe11bafb, v55
	v_fmac_f32_e32 v79, 0x3f575c64, v54
	v_mul_f32_e32 v55, 0x3f575c64, v55
	v_add_f32_e32 v67, v97, v67
	v_mov_b32_e32 v97, v96
	v_add_f32_e32 v73, v79, v73
	v_mov_b32_e32 v79, v55
	v_add_f32_e32 v52, v218, v52
	v_fmac_f32_e32 v97, 0xbf7d64f0, v75
	v_fmac_f32_e32 v96, 0x3f7d64f0, v75
	v_fmac_f32_e32 v79, 0xbf0a6770, v75
	v_fma_f32 v54, v54, s6, -v68
	v_fmac_f32_e32 v55, 0x3f0a6770, v75
	v_sub_f32_e32 v75, v99, v78
	v_add_f32_e32 v53, v219, v53
	v_add_f32_e32 v52, v54, v52
	;; [unrolled: 1-line block ×3, first 2 shown]
	v_sub_f32_e32 v68, v98, v77
	v_mul_f32_e32 v77, 0xbf7d64f0, v75
	v_add_f32_e32 v53, v55, v53
	v_add_f32_e32 v55, v99, v78
	v_mov_b32_e32 v78, v77
	v_fmac_f32_e32 v78, 0xbe11bafb, v54
	v_add_f32_e32 v74, v219, v74
	v_add_f32_e32 v57, v78, v57
	v_mul_f32_e32 v78, 0xbe11bafb, v55
	v_fma_f32 v77, v54, s12, -v77
	v_add_f32_e32 v74, v79, v74
	v_mov_b32_e32 v79, v78
	v_add_f32_e32 v56, v77, v56
	v_fmac_f32_e32 v78, 0xbf7d64f0, v68
	v_mul_f32_e32 v77, 0x3e903f40, v75
	v_add_f32_e32 v58, v78, v58
	v_mov_b32_e32 v78, v77
	v_fmac_f32_e32 v78, 0xbf75a155, v54
	v_fmac_f32_e32 v79, 0x3f7d64f0, v68
	v_add_f32_e32 v61, v78, v61
	v_mul_f32_e32 v78, 0xbf75a155, v55
	v_fma_f32 v77, v54, s14, -v77
	v_add_f32_e32 v59, v79, v59
	v_mov_b32_e32 v79, v78
	v_add_f32_e32 v60, v77, v60
	v_fmac_f32_e32 v78, 0x3e903f40, v68
	v_mul_f32_e32 v77, 0x3f68dda4, v75
	v_add_f32_e32 v62, v78, v62
	v_mov_b32_e32 v78, v77
	v_fmac_f32_e32 v78, 0x3ed4b147, v54
	v_fmac_f32_e32 v79, 0xbe903f40, v68
	v_add_f32_e32 v65, v78, v65
	v_mul_f32_e32 v78, 0x3ed4b147, v55
	v_fma_f32 v77, v54, s7, -v77
	v_add_f32_e32 v63, v79, v63
	v_mov_b32_e32 v79, v78
	v_add_f32_e32 v64, v77, v64
	v_fmac_f32_e32 v78, 0x3f68dda4, v68
	v_mul_f32_e32 v77, 0xbf0a6770, v75
	v_add_f32_e32 v66, v78, v66
	v_mov_b32_e32 v78, v77
	v_fma_f32 v77, v54, s6, -v77
	v_mul_f32_e32 v75, 0xbf4178ce, v75
	v_fmac_f32_e32 v78, 0x3f575c64, v54
	v_add_f32_e32 v69, v77, v69
	v_mov_b32_e32 v77, v75
	v_add_f32_e32 v70, v78, v70
	v_mul_f32_e32 v78, 0x3f575c64, v55
	v_fmac_f32_e32 v77, 0xbf27a4f4, v54
	v_mul_f32_e32 v55, 0xbf27a4f4, v55
	v_add_f32_e32 v73, v77, v73
	v_mov_b32_e32 v77, v55
	v_fmac_f32_e32 v55, 0xbf4178ce, v68
	v_fmac_f32_e32 v79, 0xbf68dda4, v68
	v_fma_f32 v54, v54, s13, -v75
	v_add_f32_e32 v53, v55, v53
	v_add_f32_e32 v55, v50, v76
	v_sub_f32_e32 v50, v50, v76
	v_add_f32_e32 v67, v79, v67
	v_mov_b32_e32 v79, v78
	v_add_f32_e32 v52, v54, v52
	v_add_f32_e32 v54, v24, v51
	v_sub_f32_e32 v24, v24, v51
	v_mul_f32_e32 v51, 0xbf4178ce, v50
	v_fmac_f32_e32 v79, 0x3f0a6770, v68
	v_fmac_f32_e32 v78, 0xbf0a6770, v68
	v_fmac_f32_e32 v77, 0x3f4178ce, v68
	v_mov_b32_e32 v68, v51
	v_fmac_f32_e32 v68, 0xbf27a4f4, v54
	v_add_f32_e32 v57, v68, v57
	v_mul_f32_e32 v68, 0xbf27a4f4, v55
	v_mov_b32_e32 v75, v68
	v_fma_f32 v51, v54, s13, -v51
	v_fmac_f32_e32 v68, 0xbf4178ce, v24
	v_add_f32_e32 v51, v51, v56
	v_add_f32_e32 v56, v68, v58
	v_mul_f32_e32 v58, 0x3f7d64f0, v50
	v_mov_b32_e32 v68, v58
	v_fmac_f32_e32 v68, 0xbe11bafb, v54
	v_fmac_f32_e32 v75, 0x3f4178ce, v24
	v_add_f32_e32 v61, v68, v61
	v_mul_f32_e32 v68, 0xbe11bafb, v55
	v_add_f32_e32 v59, v75, v59
	v_mov_b32_e32 v75, v68
	v_fma_f32 v58, v54, s12, -v58
	v_fmac_f32_e32 v68, 0x3f7d64f0, v24
	v_add_f32_e32 v58, v58, v60
	v_add_f32_e32 v60, v68, v62
	v_mul_f32_e32 v62, 0xbf0a6770, v50
	v_mov_b32_e32 v68, v62
	v_fmac_f32_e32 v68, 0x3f575c64, v54
	v_fmac_f32_e32 v75, 0xbf7d64f0, v24
	v_add_f32_e32 v65, v68, v65
	v_mul_f32_e32 v68, 0x3f575c64, v55
	v_add_f32_e32 v63, v75, v63
	v_mov_b32_e32 v75, v68
	v_fma_f32 v62, v54, s6, -v62
	v_fmac_f32_e32 v68, 0xbf0a6770, v24
	v_add_f32_e32 v62, v62, v64
	v_add_f32_e32 v64, v68, v66
	v_mul_f32_e32 v66, 0xbe903f40, v50
	v_mov_b32_e32 v68, v66
	v_fmac_f32_e32 v68, 0xbf75a155, v54
	v_add_f32_e32 v72, v219, v72
	v_fmac_f32_e32 v75, 0x3f0a6770, v24
	v_add_f32_e32 v68, v68, v70
	v_mul_f32_e32 v70, 0xbf75a155, v55
	v_add_f32_e32 v71, v219, v71
	v_add_f32_e32 v72, v97, v72
	;; [unrolled: 1-line block ×3, first 2 shown]
	v_mov_b32_e32 v75, v70
	v_add_f32_e32 v71, v96, v71
	v_add_f32_e32 v72, v79, v72
	v_fmac_f32_e32 v75, 0x3e903f40, v24
	v_add_f32_e32 v71, v78, v71
	v_add_f32_e32 v72, v75, v72
	v_fma_f32 v66, v54, s14, -v66
	v_fmac_f32_e32 v70, 0xbe903f40, v24
	v_mul_f32_e32 v55, 0x3ed4b147, v55
	v_add_f32_e32 v75, v47, v49
	v_add_f32_e32 v74, v77, v74
	;; [unrolled: 1-line block ×4, first 2 shown]
	v_mov_b32_e32 v71, v55
	v_sub_f32_e32 v76, v46, v48
	v_sub_f32_e32 v77, v47, v49
	v_mul_f32_e32 v49, 0xbf75a155, v75
	v_mul_f32_e32 v50, 0x3f68dda4, v50
	v_fmac_f32_e32 v71, 0xbf68dda4, v24
	v_mov_b32_e32 v47, v49
	v_fmac_f32_e32 v49, 0xbe903f40, v76
	v_mov_b32_e32 v70, v50
	v_add_f32_e32 v71, v71, v74
	v_fmac_f32_e32 v55, 0x3f68dda4, v24
	v_add_f32_e32 v74, v46, v48
	v_mul_f32_e32 v48, 0xbe903f40, v77
	v_add_f32_e32 v49, v49, v56
	v_mul_f32_e32 v56, 0xbf4178ce, v77
	v_fmac_f32_e32 v70, 0x3ed4b147, v54
	v_fma_f32 v50, v54, s7, -v50
	v_add_f32_e32 v24, v55, v53
	v_mov_b32_e32 v46, v48
	v_fma_f32 v48, v74, s14, -v48
	v_mul_f32_e32 v53, 0x3f575c64, v75
	v_mov_b32_e32 v54, v56
	v_add_f32_e32 v48, v48, v51
	v_mov_b32_e32 v51, v53
	v_fmac_f32_e32 v54, 0xbf27a4f4, v74
	v_add_f32_e32 v70, v70, v73
	v_add_f32_e32 v73, v50, v52
	v_mul_f32_e32 v52, 0x3f0a6770, v77
	v_fmac_f32_e32 v51, 0xbf0a6770, v76
	v_fmac_f32_e32 v53, 0x3f0a6770, v76
	v_add_f32_e32 v54, v54, v65
	v_mul_f32_e32 v65, 0xbe11bafb, v75
	v_mov_b32_e32 v50, v52
	v_add_f32_e32 v51, v51, v63
	v_fma_f32 v52, v74, s6, -v52
	v_add_f32_e32 v53, v53, v60
	v_mul_f32_e32 v60, 0x3f68dda4, v77
	v_mov_b32_e32 v63, v65
	v_fmac_f32_e32 v65, 0xbf7d64f0, v76
	v_add_f32_e32 v52, v52, v58
	v_mov_b32_e32 v58, v60
	v_fma_f32 v60, v74, s7, -v60
	v_add_f32_e32 v65, v65, v24
	v_add_f32_e32 v24, v212, v42
	;; [unrolled: 1-line block ×9, first 2 shown]
	v_fmac_f32_e32 v46, 0xbf75a155, v74
	v_add_f32_e32 v66, v66, v31
	v_add_f32_e32 v24, v24, v25
	;; [unrolled: 1-line block ×3, first 2 shown]
	v_mul_f32_e32 v57, 0xbf27a4f4, v75
	v_add_f32_e32 v66, v66, v27
	v_add_f32_e32 v24, v24, v28
	v_fmac_f32_e32 v50, 0x3f575c64, v74
	v_mov_b32_e32 v55, v57
	v_fmac_f32_e32 v57, 0xbf4178ce, v76
	v_add_f32_e32 v66, v66, v29
	v_add_f32_e32 v24, v24, v32
	v_fmac_f32_e32 v47, 0x3e903f40, v76
	v_add_f32_e32 v50, v50, v61
	v_fma_f32 v56, v74, s13, -v56
	v_add_f32_e32 v57, v57, v64
	v_fmac_f32_e32 v58, 0x3ed4b147, v74
	v_mul_f32_e32 v61, 0x3ed4b147, v75
	v_mul_f32_e32 v64, 0xbf7d64f0, v77
	v_add_f32_e32 v66, v66, v33
	v_add_f32_e32 v24, v24, v36
	;; [unrolled: 1-line block ×3, first 2 shown]
	v_fmac_f32_e32 v55, 0x3f4178ce, v76
	v_add_f32_e32 v56, v56, v62
	v_add_f32_e32 v58, v58, v68
	v_mov_b32_e32 v59, v61
	v_fmac_f32_e32 v61, 0x3f68dda4, v76
	v_mov_b32_e32 v62, v64
	v_fma_f32 v64, v74, s12, -v64
	v_add_f32_e32 v66, v66, v37
	v_add_f32_e32 v24, v24, v40
	;; [unrolled: 1-line block ×5, first 2 shown]
	v_fmac_f32_e32 v62, 0xbe11bafb, v74
	v_fmac_f32_e32 v63, 0x3f7d64f0, v76
	v_add_f32_e32 v64, v64, v73
	v_add_f32_e32 v67, v66, v41
	;; [unrolled: 1-line block ×4, first 2 shown]
	v_sub_f32_e32 v42, v42, v44
	v_sub_f32_e32 v43, v43, v45
	v_mul_f32_e32 v69, 0x3f575c64, v68
	v_mul_f32_e32 v73, 0x3ed4b147, v68
	;; [unrolled: 1-line block ×5, first 2 shown]
	v_fmac_f32_e32 v59, 0xbf68dda4, v76
	v_add_f32_e32 v62, v62, v70
	v_add_f32_e32 v63, v63, v71
	v_mul_f32_e32 v44, 0xbf0a6770, v43
	v_mov_b32_e32 v70, v69
	v_mul_f32_e32 v71, 0xbf68dda4, v43
	v_mov_b32_e32 v74, v73
	;; [unrolled: 2-line block ×5, first 2 shown]
	v_fmac_f32_e32 v68, 0xbe903f40, v42
	v_add_f32_e32 v59, v59, v72
	v_add_f32_e32 v67, v67, v45
	v_mov_b32_e32 v45, v44
	v_fmac_f32_e32 v70, 0x3f0a6770, v42
	v_fmac_f32_e32 v69, 0xbf0a6770, v42
	v_mov_b32_e32 v72, v71
	v_fmac_f32_e32 v74, 0x3f68dda4, v42
	v_fmac_f32_e32 v73, 0xbf68dda4, v42
	;; [unrolled: 3-line block ×4, first 2 shown]
	v_mov_b32_e32 v99, v43
	v_fmac_f32_e32 v100, 0x3e903f40, v42
	v_add_f32_e32 v42, v213, v68
	v_add_f32_e32 v68, v39, v41
	v_sub_f32_e32 v39, v39, v41
	v_fmac_f32_e32 v45, 0x3f575c64, v24
	v_fma_f32 v44, v24, s6, -v44
	v_fmac_f32_e32 v72, 0x3ed4b147, v24
	v_fma_f32 v71, v24, s7, -v71
	;; [unrolled: 2-line block ×5, first 2 shown]
	v_add_f32_e32 v43, v38, v40
	v_sub_f32_e32 v38, v38, v40
	v_mul_f32_e32 v40, 0xbf68dda4, v39
	v_mov_b32_e32 v41, v40
	v_add_f32_e32 v45, v212, v45
	v_fmac_f32_e32 v41, 0x3ed4b147, v43
	v_add_f32_e32 v41, v41, v45
	v_mul_f32_e32 v45, 0x3ed4b147, v68
	v_add_f32_e32 v44, v212, v44
	v_add_f32_e32 v69, v213, v69
	v_mov_b32_e32 v101, v45
	v_fma_f32 v40, v43, s7, -v40
	v_fmac_f32_e32 v45, 0xbf68dda4, v38
	v_add_f32_e32 v40, v40, v44
	v_add_f32_e32 v44, v45, v69
	v_mul_f32_e32 v45, 0xbf4178ce, v39
	v_mov_b32_e32 v69, v45
	v_add_f32_e32 v72, v212, v72
	v_fmac_f32_e32 v69, 0xbf27a4f4, v43
	v_add_f32_e32 v70, v213, v70
	v_fmac_f32_e32 v101, 0x3f68dda4, v38
	v_add_f32_e32 v69, v69, v72
	v_mul_f32_e32 v72, 0xbf27a4f4, v68
	v_add_f32_e32 v71, v212, v71
	v_add_f32_e32 v73, v213, v73
	v_add_f32_e32 v70, v101, v70
	v_mov_b32_e32 v101, v72
	v_fma_f32 v45, v43, s13, -v45
	v_fmac_f32_e32 v72, 0xbf4178ce, v38
	v_add_f32_e32 v45, v45, v71
	v_add_f32_e32 v71, v72, v73
	v_mul_f32_e32 v72, 0x3e903f40, v39
	v_mov_b32_e32 v73, v72
	v_add_f32_e32 v76, v212, v76
	v_fmac_f32_e32 v73, 0xbf75a155, v43
	v_add_f32_e32 v74, v213, v74
	v_fmac_f32_e32 v101, 0x3f4178ce, v38
	v_add_f32_e32 v73, v73, v76
	v_mul_f32_e32 v76, 0xbf75a155, v68
	v_add_f32_e32 v75, v212, v75
	;; [unrolled: 16-line block ×3, first 2 shown]
	v_add_f32_e32 v97, v213, v97
	v_add_f32_e32 v78, v101, v78
	v_mov_b32_e32 v101, v96
	v_fma_f32 v76, v43, s12, -v76
	v_fmac_f32_e32 v96, 0x3f7d64f0, v38
	v_mul_f32_e32 v68, 0x3f575c64, v68
	v_add_f32_e32 v76, v76, v79
	v_add_f32_e32 v79, v96, v97
	v_mul_f32_e32 v39, 0x3f0a6770, v39
	v_mov_b32_e32 v97, v68
	v_fmac_f32_e32 v68, 0x3f0a6770, v38
	v_add_f32_e32 v24, v212, v24
	v_fmac_f32_e32 v101, 0xbf7d64f0, v38
	v_mov_b32_e32 v96, v39
	v_fmac_f32_e32 v97, 0xbf0a6770, v38
	v_fma_f32 v39, v43, s6, -v39
	v_add_f32_e32 v38, v68, v42
	v_add_f32_e32 v42, v35, v37
	v_sub_f32_e32 v35, v35, v37
	v_add_f32_e32 v24, v39, v24
	v_add_f32_e32 v39, v34, v36
	v_sub_f32_e32 v34, v34, v36
	v_mul_f32_e32 v36, 0xbf7d64f0, v35
	v_mov_b32_e32 v37, v36
	v_fmac_f32_e32 v37, 0xbe11bafb, v39
	v_add_f32_e32 v37, v37, v41
	v_mul_f32_e32 v41, 0xbe11bafb, v42
	v_fmac_f32_e32 v96, 0x3f575c64, v43
	v_mov_b32_e32 v43, v41
	v_fma_f32 v36, v39, s12, -v36
	v_fmac_f32_e32 v41, 0xbf7d64f0, v34
	v_add_f32_e32 v36, v36, v40
	v_add_f32_e32 v40, v41, v44
	v_mul_f32_e32 v41, 0x3e903f40, v35
	v_mov_b32_e32 v44, v41
	v_fmac_f32_e32 v44, 0xbf75a155, v39
	v_mul_f32_e32 v68, 0xbf75a155, v42
	v_add_f32_e32 v44, v44, v69
	v_mov_b32_e32 v69, v68
	v_fma_f32 v41, v39, s14, -v41
	v_fmac_f32_e32 v68, 0x3e903f40, v34
	v_fmac_f32_e32 v43, 0x3f7d64f0, v34
	v_add_f32_e32 v41, v41, v45
	v_add_f32_e32 v45, v68, v71
	v_mul_f32_e32 v68, 0x3f68dda4, v35
	v_add_f32_e32 v43, v43, v70
	v_mov_b32_e32 v70, v68
	v_fma_f32 v68, v39, s7, -v68
	v_fmac_f32_e32 v69, 0xbe903f40, v34
	v_fmac_f32_e32 v70, 0x3ed4b147, v39
	v_mul_f32_e32 v71, 0x3ed4b147, v42
	v_add_f32_e32 v68, v68, v72
	v_mul_f32_e32 v72, 0xbf0a6770, v35
	v_add_f32_e32 v69, v69, v74
	v_add_f32_e32 v70, v70, v73
	v_mov_b32_e32 v73, v71
	v_fmac_f32_e32 v71, 0x3f68dda4, v34
	v_mov_b32_e32 v74, v72
	v_fmac_f32_e32 v73, 0xbf68dda4, v34
	v_add_f32_e32 v71, v71, v75
	v_fmac_f32_e32 v74, 0x3f575c64, v39
	v_mul_f32_e32 v75, 0x3f575c64, v42
	v_mul_f32_e32 v42, 0xbf27a4f4, v42
	v_add_f32_e32 v73, v73, v78
	v_add_f32_e32 v74, v74, v77
	v_mov_b32_e32 v77, v75
	v_fma_f32 v72, v39, s6, -v72
	v_mul_f32_e32 v35, 0xbf4178ce, v35
	v_mov_b32_e32 v78, v42
	v_fmac_f32_e32 v42, 0xbf4178ce, v34
	v_fmac_f32_e32 v77, 0x3f0a6770, v34
	v_add_f32_e32 v72, v72, v76
	v_fmac_f32_e32 v75, 0xbf0a6770, v34
	v_mov_b32_e32 v76, v35
	v_fmac_f32_e32 v78, 0x3f4178ce, v34
	v_fma_f32 v35, v39, s13, -v35
	v_add_f32_e32 v34, v42, v38
	v_add_f32_e32 v38, v31, v33
	v_sub_f32_e32 v31, v31, v33
	v_add_f32_e32 v24, v35, v24
	v_add_f32_e32 v35, v30, v32
	v_sub_f32_e32 v30, v30, v32
	v_mul_f32_e32 v32, 0xbf4178ce, v31
	v_mov_b32_e32 v33, v32
	v_fmac_f32_e32 v33, 0xbf27a4f4, v35
	v_add_f32_e32 v33, v33, v37
	v_mul_f32_e32 v37, 0xbf27a4f4, v38
	v_fmac_f32_e32 v76, 0xbf27a4f4, v39
	v_mov_b32_e32 v39, v37
	v_fma_f32 v32, v35, s13, -v32
	v_fmac_f32_e32 v37, 0xbf4178ce, v30
	v_fmac_f32_e32 v39, 0x3f4178ce, v30
	v_add_f32_e32 v32, v32, v36
	v_add_f32_e32 v36, v37, v40
	v_mul_f32_e32 v37, 0x3f7d64f0, v31
	v_mul_f32_e32 v42, 0xbe11bafb, v38
	v_add_f32_e32 v39, v39, v43
	v_mov_b32_e32 v40, v37
	v_mov_b32_e32 v43, v42
	v_fma_f32 v37, v35, s12, -v37
	v_fmac_f32_e32 v42, 0x3f7d64f0, v30
	v_fmac_f32_e32 v40, 0xbe11bafb, v35
	v_add_f32_e32 v37, v37, v41
	v_add_f32_e32 v41, v42, v45
	v_mul_f32_e32 v42, 0xbf0a6770, v31
	v_add_f32_e32 v40, v40, v44
	v_mov_b32_e32 v44, v42
	v_fma_f32 v42, v35, s6, -v42
	v_fmac_f32_e32 v43, 0xbf7d64f0, v30
	v_fmac_f32_e32 v44, 0x3f575c64, v35
	v_mul_f32_e32 v45, 0x3f575c64, v38
	v_add_f32_e32 v42, v42, v68
	v_mul_f32_e32 v68, 0xbe903f40, v31
	v_add_f32_e32 v43, v43, v69
	v_add_f32_e32 v44, v44, v70
	v_mov_b32_e32 v69, v45
	v_fmac_f32_e32 v45, 0xbf0a6770, v30
	v_mov_b32_e32 v70, v68
	v_add_f32_e32 v100, v213, v100
	v_add_f32_e32 v45, v45, v71
	v_fmac_f32_e32 v70, 0xbf75a155, v35
	v_mul_f32_e32 v71, 0xbf75a155, v38
	v_mul_f32_e32 v38, 0x3ed4b147, v38
	v_add_f32_e32 v98, v213, v98
	v_add_f32_e32 v97, v97, v100
	v_fmac_f32_e32 v69, 0x3f0a6770, v30
	v_add_f32_e32 v70, v70, v74
	v_mov_b32_e32 v74, v38
	v_add_f32_e32 v98, v101, v98
	v_add_f32_e32 v78, v78, v97
	;; [unrolled: 1-line block ×3, first 2 shown]
	v_mov_b32_e32 v73, v71
	v_fmac_f32_e32 v74, 0xbf68dda4, v30
	v_add_f32_e32 v77, v77, v98
	v_fmac_f32_e32 v73, 0x3e903f40, v30
	v_add_f32_e32 v74, v74, v78
	v_add_f32_e32 v78, v27, v29
	;; [unrolled: 1-line block ×5, first 2 shown]
	v_fma_f32 v68, v35, s14, -v68
	v_mul_f32_e32 v31, 0x3f68dda4, v31
	v_add_f32_e32 v77, v25, v28
	v_sub_f32_e32 v79, v25, v28
	v_mul_f32_e32 v28, 0xbf75a155, v78
	v_add_f32_e32 v96, v96, v99
	v_add_f32_e32 v68, v68, v72
	v_mov_b32_e32 v72, v31
	v_mov_b32_e32 v25, v28
	v_fmac_f32_e32 v28, 0xbe903f40, v79
	v_add_f32_e32 v76, v76, v96
	v_fmac_f32_e32 v72, 0x3ed4b147, v35
	v_fmac_f32_e32 v38, 0x3f68dda4, v30
	v_add_f32_e32 v28, v28, v36
	v_mul_f32_e32 v36, 0xbf27a4f4, v78
	v_add_f32_e32 v72, v72, v76
	v_add_f32_e32 v76, v38, v34
	v_mov_b32_e32 v34, v36
	v_fmac_f32_e32 v36, 0xbf4178ce, v79
	v_add_f32_e32 v36, v36, v45
	buffer_load_dword v45, off, s[20:23], 0 offset:440 ; 4-byte Folded Reload
	v_add_f32_e32 v0, v0, v116
	s_waitcnt vmcnt(0)
	ds_write2_b64 v45, v[0:1], v[6:7] offset1:7
	ds_write2_b64 v45, v[8:9], v[12:13] offset0:14 offset1:21
	ds_write2_b64 v45, v[14:15], v[18:19] offset0:28 offset1:35
	;; [unrolled: 1-line block ×4, first 2 shown]
	ds_write_b64 v45, v[2:3] offset:560
	buffer_load_dword v0, off, s[20:23], 0 offset:444 ; 4-byte Folded Reload
	s_waitcnt vmcnt(0)
	ds_write2_b64 v0, v[22:23], v[46:47] offset1:7
	ds_write2_b64 v0, v[50:51], v[54:55] offset0:14 offset1:21
	ds_write2_b64 v0, v[58:59], v[62:63] offset0:28 offset1:35
	;; [unrolled: 1-line block ×4, first 2 shown]
	ds_write_b64 v0, v[48:49] offset:560
	buffer_load_dword v0, off, s[20:23], 0 offset:448 ; 4-byte Folded Reload
	v_sub_f32_e32 v96, v27, v29
	v_fmac_f32_e32 v71, 0xbe903f40, v30
	v_fma_f32 v31, v35, s7, -v31
	v_mul_f32_e32 v27, 0xbe903f40, v96
	v_add_f32_e32 v71, v71, v75
	v_add_f32_e32 v75, v31, v24
	v_mov_b32_e32 v24, v27
	v_fma_f32 v27, v77, s14, -v27
	v_fmac_f32_e32 v24, 0xbf75a155, v77
	v_add_f32_e32 v27, v27, v32
	v_mul_f32_e32 v31, 0x3f0a6770, v96
	v_mul_f32_e32 v32, 0x3f575c64, v78
	;; [unrolled: 1-line block ×3, first 2 shown]
	v_add_f32_e32 v24, v24, v33
	v_mov_b32_e32 v29, v31
	v_mov_b32_e32 v30, v32
	;; [unrolled: 1-line block ×3, first 2 shown]
	v_fmac_f32_e32 v25, 0x3e903f40, v79
	v_fmac_f32_e32 v29, 0x3f575c64, v77
	;; [unrolled: 1-line block ×4, first 2 shown]
	v_add_f32_e32 v25, v25, v39
	v_add_f32_e32 v29, v29, v40
	;; [unrolled: 1-line block ×3, first 2 shown]
	v_fma_f32 v31, v77, s6, -v31
	v_fmac_f32_e32 v32, 0x3f0a6770, v79
	v_add_f32_e32 v33, v33, v44
	v_fma_f32 v35, v77, s13, -v35
	v_mul_f32_e32 v39, 0x3f68dda4, v96
	v_mul_f32_e32 v40, 0x3ed4b147, v78
	;; [unrolled: 1-line block ×4, first 2 shown]
	v_add_f32_e32 v31, v31, v37
	v_add_f32_e32 v32, v32, v41
	;; [unrolled: 1-line block ×3, first 2 shown]
	v_mov_b32_e32 v37, v39
	v_mov_b32_e32 v38, v40
	;; [unrolled: 1-line block ×4, first 2 shown]
	v_fmac_f32_e32 v34, 0x3f4178ce, v79
	v_fmac_f32_e32 v37, 0x3ed4b147, v77
	;; [unrolled: 1-line block ×3, first 2 shown]
	v_fma_f32 v39, v77, s7, -v39
	v_fmac_f32_e32 v40, 0x3f68dda4, v79
	v_fmac_f32_e32 v41, 0xbe11bafb, v77
	;; [unrolled: 1-line block ×3, first 2 shown]
	v_fma_f32 v43, v77, s12, -v43
	v_fmac_f32_e32 v44, 0xbf7d64f0, v79
	v_add_f32_e32 v34, v34, v69
	v_add_f32_e32 v37, v37, v70
	;; [unrolled: 1-line block ×9, first 2 shown]
	s_waitcnt vmcnt(0)
	ds_write2_b64 v0, v[66:67], v[24:25] offset1:7
	ds_write2_b64 v0, v[29:30], v[33:34] offset0:14 offset1:21
	ds_write2_b64 v0, v[37:38], v[41:42] offset0:28 offset1:35
	;; [unrolled: 1-line block ×4, first 2 shown]
	ds_write_b64 v0, v[27:28] offset:560
	s_and_saveexec_b64 s[4:5], s[0:1]
	s_cbranch_execz .LBB0_9
; %bb.8:
	buffer_load_dword v21, off, s[20:23], 0 offset:540 ; 4-byte Folded Reload
	buffer_load_dword v22, off, s[20:23], 0 offset:544 ; 4-byte Folded Reload
	;; [unrolled: 1-line block ×14, first 2 shown]
	buffer_load_dword v27, off, s[20:23], 0 ; 4-byte Folded Reload
	buffer_load_dword v28, off, s[20:23], 0 offset:4 ; 4-byte Folded Reload
	buffer_load_dword v29, off, s[20:23], 0 offset:8 ; 4-byte Folded Reload
	;; [unrolled: 1-line block ×7, first 2 shown]
	s_waitcnt vmcnt(17)
	v_mul_f32_e32 v0, v24, v5
	s_waitcnt vmcnt(16)
	v_fma_f32 v10, v23, v6, -v0
	s_waitcnt vmcnt(14)
	v_mul_f32_e32 v0, v2, v210
	v_mul_f32_e32 v13, v2, v211
	v_fma_f32 v11, v1, v211, -v0
	v_fmac_f32_e32 v13, v1, v210
	s_waitcnt vmcnt(9)
	v_mul_f32_e32 v1, v22, v33
	v_mul_f32_e32 v14, v24, v6
	s_waitcnt vmcnt(8)
	v_fma_f32 v15, v21, v34, -v1
	s_waitcnt vmcnt(7)
	v_mul_f32_e32 v1, v4, v27
	s_waitcnt vmcnt(6)
	v_mul_f32_e32 v18, v4, v28
	v_fmac_f32_e32 v14, v23, v5
	v_fma_f32 v16, v3, v28, -v1
	v_fmac_f32_e32 v18, v3, v27
	buffer_load_dword v2, off, s[20:23], 0 offset:492 ; 4-byte Folded Reload
	buffer_load_dword v3, off, s[20:23], 0 offset:496 ; 4-byte Folded Reload
	;; [unrolled: 1-line block ×12, first 2 shown]
	v_add_f32_e32 v8, v10, v11
	v_mul_f32_e32 v12, 0xbf75a155, v8
	v_add_f32_e32 v9, v15, v16
	v_mul_f32_e32 v19, v22, v34
	v_sub_f32_e32 v20, v13, v14
	v_mov_b32_e32 v0, v12
	v_mul_f32_e32 v17, 0x3f575c64, v9
	v_fmac_f32_e32 v19, v21, v33
	v_fmac_f32_e32 v0, 0x3e903f40, v20
	v_sub_f32_e32 v21, v18, v19
	v_mov_b32_e32 v1, v17
	v_add_f32_e32 v0, v209, v0
	v_fmac_f32_e32 v1, 0xbf0a6770, v21
	v_add_f32_e32 v0, v1, v0
	s_waitcnt vmcnt(12)
	v_mul_f32_e32 v1, v39, v31
	v_fma_f32 v22, v38, v32, -v1
	v_mul_f32_e32 v28, v39, v32
	v_fmac_f32_e32 v28, v38, v31
	v_sub_f32_e32 v48, v16, v15
	v_mul_f32_e32 v49, 0x3f0a6770, v48
	v_mul_f32_e32 v59, 0xbf27a4f4, v8
	v_mul_f32_e32 v60, 0xbe11bafb, v9
	v_mul_f32_e32 v65, 0x3f7d64f0, v48
	v_mul_f32_e32 v69, 0xbe11bafb, v8
	v_mul_f32_e32 v70, 0xbf75a155, v9
	v_mul_f32_e32 v75, 0x3e903f40, v48
	v_mov_b32_e32 v6, v75
	v_fmac_f32_e32 v12, 0xbe903f40, v20
	v_add_f32_e32 v12, v209, v12
	v_fmac_f32_e32 v17, 0x3f0a6770, v21
	v_add_f32_e32 v12, v17, v12
	v_mul_f32_e32 v79, 0x3ed4b147, v8
	v_mul_f32_e32 v96, 0xbf27a4f4, v9
	v_mov_b32_e32 v7, v96
	v_fmac_f32_e32 v7, 0x3f4178ce, v21
	v_mul_f32_e32 v101, 0xbf4178ce, v48
	v_mov_b32_e32 v102, v101
	v_mul_f32_e32 v110, 0x3ed4b147, v9
	v_fmac_f32_e32 v96, 0xbf4178ce, v21
	v_mov_b32_e32 v9, v110
	v_fmac_f32_e32 v9, 0x3f68dda4, v21
	v_fmac_f32_e32 v110, 0xbf68dda4, v21
	v_mul_f32_e32 v48, 0xbf68dda4, v48
	v_mov_b32_e32 v111, v48
	s_waitcnt vmcnt(10)
	v_mul_f32_e32 v1, v3, v29
	v_fma_f32 v23, v2, v30, -v1
	v_add_f32_e32 v24, v22, v23
	v_mul_f32_e32 v27, v3, v30
	v_mul_f32_e32 v25, 0xbf27a4f4, v24
	v_fmac_f32_e32 v27, v2, v29
	v_sub_f32_e32 v29, v27, v28
	v_mov_b32_e32 v1, v25
	v_fmac_f32_e32 v1, 0x3f4178ce, v29
	v_add_f32_e32 v0, v1, v0
	s_waitcnt vmcnt(5)
	v_mul_f32_e32 v1, v37, v46
	s_waitcnt vmcnt(4)
	v_fma_f32 v30, v36, v47, -v1
	s_waitcnt vmcnt(3)
	v_mul_f32_e32 v1, v5, v40
	s_waitcnt vmcnt(2)
	v_mul_f32_e32 v34, v5, v41
	v_fma_f32 v31, v4, v41, -v1
	v_fmac_f32_e32 v34, v4, v40
	buffer_load_dword v2, off, s[20:23], 0 offset:476 ; 4-byte Folded Reload
	buffer_load_dword v3, off, s[20:23], 0 offset:480 ; 4-byte Folded Reload
	;; [unrolled: 1-line block ×4, first 2 shown]
	v_add_f32_e32 v32, v30, v31
	v_mul_f32_e32 v35, v37, v47
	v_mul_f32_e32 v33, 0x3ed4b147, v32
	v_fmac_f32_e32 v35, v36, v46
	v_sub_f32_e32 v36, v34, v35
	v_mov_b32_e32 v1, v33
	v_fmac_f32_e32 v1, 0xbf68dda4, v36
	v_add_f32_e32 v0, v1, v0
	v_add_f32_e32 v47, v19, v18
	v_sub_f32_e32 v51, v23, v22
	v_mul_f32_e32 v52, 0xbf4178ce, v51
	v_add_f32_e32 v50, v28, v27
	v_sub_f32_e32 v54, v31, v30
	v_mul_f32_e32 v55, 0x3f68dda4, v54
	v_add_f32_e32 v53, v35, v34
	v_mul_f32_e32 v61, 0x3f575c64, v24
	v_mul_f32_e32 v62, 0xbf75a155, v32
	;; [unrolled: 1-line block ×6, first 2 shown]
	v_fmac_f32_e32 v6, 0xbf75a155, v47
	v_mul_f32_e32 v76, 0x3f68dda4, v51
	v_mul_f32_e32 v77, 0xbf0a6770, v54
	v_fmac_f32_e32 v25, 0xbf4178ce, v29
	v_add_f32_e32 v12, v25, v12
	v_fmac_f32_e32 v33, 0x3f68dda4, v36
	v_add_f32_e32 v12, v33, v12
	v_mul_f32_e32 v97, 0xbf75a155, v24
	v_mul_f32_e32 v98, 0xbe11bafb, v32
	v_fmac_f32_e32 v102, 0xbf27a4f4, v47
	v_mul_f32_e32 v24, 0xbe11bafb, v24
	v_mul_f32_e32 v32, 0xbf27a4f4, v32
	v_fmac_f32_e32 v111, 0x3ed4b147, v47
	s_waitcnt vmcnt(0)
	v_mul_f32_e32 v1, v5, v44
	v_fma_f32 v37, v4, v45, -v1
	v_mul_f32_e32 v1, v3, v42
	v_fma_f32 v38, v2, v43, -v1
	v_mul_f32_e32 v41, v3, v43
	v_add_f32_e32 v39, v37, v38
	v_fmac_f32_e32 v41, v2, v42
	v_mul_f32_e32 v42, v5, v45
	v_mul_f32_e32 v40, 0xbe11bafb, v39
	v_fmac_f32_e32 v42, v4, v44
	v_sub_f32_e32 v43, v41, v42
	v_mov_b32_e32 v1, v40
	v_sub_f32_e32 v45, v11, v10
	v_fmac_f32_e32 v1, 0x3f7d64f0, v43
	v_mul_f32_e32 v46, 0xbe903f40, v45
	v_add_f32_e32 v1, v1, v0
	v_add_f32_e32 v44, v14, v13
	v_mov_b32_e32 v0, v46
	v_fmac_f32_e32 v0, 0xbf75a155, v44
	v_mov_b32_e32 v2, v49
	v_add_f32_e32 v0, v208, v0
	v_fmac_f32_e32 v2, 0x3f575c64, v47
	v_add_f32_e32 v0, v2, v0
	v_mov_b32_e32 v2, v52
	v_fmac_f32_e32 v2, 0xbf27a4f4, v50
	v_add_f32_e32 v0, v2, v0
	v_mov_b32_e32 v2, v55
	v_sub_f32_e32 v57, v38, v37
	v_fmac_f32_e32 v2, 0x3ed4b147, v53
	v_mul_f32_e32 v58, 0xbf7d64f0, v57
	v_add_f32_e32 v0, v2, v0
	v_add_f32_e32 v56, v42, v41
	v_mov_b32_e32 v2, v58
	v_fmac_f32_e32 v2, 0xbe11bafb, v56
	v_add_f32_e32 v0, v2, v0
	v_mov_b32_e32 v2, v59
	v_fmac_f32_e32 v2, 0x3f4178ce, v20
	v_mov_b32_e32 v3, v60
	v_add_f32_e32 v2, v209, v2
	v_fmac_f32_e32 v3, 0xbf7d64f0, v21
	v_add_f32_e32 v2, v3, v2
	v_mov_b32_e32 v3, v61
	v_fmac_f32_e32 v3, 0x3f0a6770, v29
	v_add_f32_e32 v2, v3, v2
	v_mov_b32_e32 v3, v62
	v_fmac_f32_e32 v3, 0x3e903f40, v36
	v_mul_f32_e32 v63, 0x3ed4b147, v39
	v_add_f32_e32 v2, v3, v2
	v_mov_b32_e32 v3, v63
	v_fmac_f32_e32 v3, 0xbf68dda4, v43
	v_mul_f32_e32 v64, 0xbf4178ce, v45
	v_add_f32_e32 v3, v3, v2
	v_mov_b32_e32 v2, v64
	v_fmac_f32_e32 v2, 0xbf27a4f4, v44
	v_mov_b32_e32 v4, v65
	v_add_f32_e32 v2, v208, v2
	v_fmac_f32_e32 v4, 0xbe11bafb, v47
	v_add_f32_e32 v2, v4, v2
	v_mov_b32_e32 v4, v66
	v_fmac_f32_e32 v4, 0x3f575c64, v50
	v_add_f32_e32 v2, v4, v2
	v_mov_b32_e32 v4, v67
	v_fmac_f32_e32 v4, 0xbf75a155, v53
	v_mul_f32_e32 v68, 0x3f68dda4, v57
	v_add_f32_e32 v2, v4, v2
	v_mov_b32_e32 v4, v68
	v_fmac_f32_e32 v4, 0x3ed4b147, v56
	v_add_f32_e32 v2, v4, v2
	v_mov_b32_e32 v4, v69
	v_add_f32_e32 v11, v11, v209
	v_fmac_f32_e32 v4, 0x3f7d64f0, v20
	v_mov_b32_e32 v5, v70
	v_add_f32_e32 v11, v16, v11
	v_add_f32_e32 v4, v209, v4
	v_fmac_f32_e32 v5, 0xbe903f40, v21
	v_add_f32_e32 v11, v23, v11
	v_add_f32_e32 v4, v5, v4
	v_mov_b32_e32 v5, v71
	v_add_f32_e32 v11, v31, v11
	v_fmac_f32_e32 v5, 0xbf68dda4, v29
	v_add_f32_e32 v11, v38, v11
	v_add_f32_e32 v4, v5, v4
	v_mov_b32_e32 v5, v72
	v_add_f32_e32 v11, v37, v11
	v_fmac_f32_e32 v5, 0x3f0a6770, v36
	v_mul_f32_e32 v73, 0xbf27a4f4, v39
	v_add_f32_e32 v11, v30, v11
	v_add_f32_e32 v4, v5, v4
	v_mov_b32_e32 v5, v73
	v_add_f32_e32 v11, v22, v11
	v_fmac_f32_e32 v5, 0x3f4178ce, v43
	v_mul_f32_e32 v74, 0xbf7d64f0, v45
	v_add_f32_e32 v11, v15, v11
	v_add_f32_e32 v5, v5, v4
	v_mov_b32_e32 v4, v74
	v_add_f32_e32 v11, v10, v11
	v_add_f32_e32 v10, v208, v13
	v_fmac_f32_e32 v4, 0xbe11bafb, v44
	v_add_f32_e32 v10, v18, v10
	v_add_f32_e32 v4, v208, v4
	;; [unrolled: 1-line block ×4, first 2 shown]
	v_mov_b32_e32 v6, v76
	v_add_f32_e32 v10, v34, v10
	v_fmac_f32_e32 v6, 0x3ed4b147, v50
	v_add_f32_e32 v10, v41, v10
	v_add_f32_e32 v4, v6, v4
	v_mov_b32_e32 v6, v77
	v_add_f32_e32 v10, v42, v10
	v_fmac_f32_e32 v6, 0x3f575c64, v53
	v_mul_f32_e32 v78, 0xbf4178ce, v57
	v_add_f32_e32 v10, v35, v10
	v_add_f32_e32 v4, v6, v4
	v_mov_b32_e32 v6, v78
	v_add_f32_e32 v10, v28, v10
	v_fmac_f32_e32 v40, 0xbf7d64f0, v43
	v_fmac_f32_e32 v6, 0xbf27a4f4, v56
	v_add_f32_e32 v10, v19, v10
	v_add_f32_e32 v13, v40, v12
	v_fma_f32 v12, v44, s14, -v46
	v_add_f32_e32 v4, v6, v4
	v_mov_b32_e32 v6, v79
	v_add_f32_e32 v10, v14, v10
	v_add_f32_e32 v12, v208, v12
	v_fma_f32 v14, v47, s6, -v49
	v_fmac_f32_e32 v6, 0x3f68dda4, v20
	v_add_f32_e32 v12, v14, v12
	v_fma_f32 v14, v50, s13, -v52
	v_add_f32_e32 v6, v209, v6
	v_add_f32_e32 v12, v14, v12
	v_fma_f32 v14, v53, s7, -v55
	v_add_f32_e32 v6, v7, v6
	v_mov_b32_e32 v7, v97
	v_add_f32_e32 v12, v14, v12
	v_fma_f32 v14, v56, s12, -v58
	v_fmac_f32_e32 v59, 0xbf4178ce, v20
	v_fmac_f32_e32 v7, 0xbe903f40, v29
	v_add_f32_e32 v12, v14, v12
	v_add_f32_e32 v14, v209, v59
	v_fmac_f32_e32 v60, 0x3f7d64f0, v21
	v_add_f32_e32 v6, v7, v6
	v_mov_b32_e32 v7, v98
	v_add_f32_e32 v14, v60, v14
	v_fmac_f32_e32 v61, 0xbf0a6770, v29
	v_fmac_f32_e32 v7, 0xbf7d64f0, v36
	v_mul_f32_e32 v99, 0x3f575c64, v39
	v_add_f32_e32 v14, v61, v14
	v_fmac_f32_e32 v62, 0xbe903f40, v36
	v_add_f32_e32 v6, v7, v6
	v_mov_b32_e32 v7, v99
	v_add_f32_e32 v14, v62, v14
	v_fmac_f32_e32 v63, 0x3f68dda4, v43
	v_fmac_f32_e32 v7, 0xbf0a6770, v43
	v_mul_f32_e32 v100, 0xbf68dda4, v45
	v_add_f32_e32 v15, v63, v14
	v_fma_f32 v14, v44, s13, -v64
	v_add_f32_e32 v7, v7, v6
	v_mov_b32_e32 v6, v100
	v_add_f32_e32 v14, v208, v14
	v_fma_f32 v16, v47, s12, -v65
	v_fmac_f32_e32 v6, 0x3ed4b147, v44
	v_add_f32_e32 v14, v16, v14
	v_fma_f32 v16, v50, s6, -v66
	v_add_f32_e32 v6, v208, v6
	v_add_f32_e32 v14, v16, v14
	v_fma_f32 v16, v53, s14, -v67
	v_add_f32_e32 v6, v102, v6
	v_mul_f32_e32 v102, 0x3e903f40, v51
	v_add_f32_e32 v14, v16, v14
	v_fma_f32 v16, v56, s7, -v68
	v_fmac_f32_e32 v69, 0xbf7d64f0, v20
	v_mov_b32_e32 v103, v102
	v_add_f32_e32 v14, v16, v14
	v_add_f32_e32 v16, v209, v69
	v_fmac_f32_e32 v70, 0x3e903f40, v21
	v_fmac_f32_e32 v103, 0xbf75a155, v50
	v_add_f32_e32 v16, v70, v16
	v_fmac_f32_e32 v71, 0x3f68dda4, v29
	v_add_f32_e32 v6, v103, v6
	v_mul_f32_e32 v103, 0x3f7d64f0, v54
	v_add_f32_e32 v16, v71, v16
	v_fmac_f32_e32 v72, 0xbf0a6770, v36
	v_mov_b32_e32 v108, v103
	v_add_f32_e32 v16, v72, v16
	v_fmac_f32_e32 v73, 0xbf4178ce, v43
	v_fmac_f32_e32 v108, 0xbe11bafb, v53
	v_add_f32_e32 v17, v73, v16
	v_fma_f32 v16, v44, s12, -v74
	v_add_f32_e32 v6, v108, v6
	v_mul_f32_e32 v108, 0x3f0a6770, v57
	v_add_f32_e32 v16, v208, v16
	v_fma_f32 v18, v47, s14, -v75
	v_mov_b32_e32 v109, v108
	v_add_f32_e32 v16, v18, v16
	v_fma_f32 v18, v50, s7, -v76
	v_fmac_f32_e32 v109, 0x3f575c64, v56
	v_add_f32_e32 v16, v18, v16
	v_fma_f32 v18, v53, s6, -v77
	v_add_f32_e32 v6, v109, v6
	v_mul_f32_e32 v109, 0x3f575c64, v8
	v_add_f32_e32 v16, v18, v16
	v_fma_f32 v18, v56, s13, -v78
	v_fmac_f32_e32 v79, 0xbf68dda4, v20
	v_mov_b32_e32 v8, v109
	v_add_f32_e32 v16, v18, v16
	v_add_f32_e32 v18, v209, v79
	v_fmac_f32_e32 v8, 0x3f0a6770, v20
	v_add_f32_e32 v18, v96, v18
	v_fmac_f32_e32 v97, 0x3e903f40, v29
	v_add_f32_e32 v8, v209, v8
	v_add_f32_e32 v18, v97, v18
	v_fmac_f32_e32 v98, 0x3f7d64f0, v36
	v_add_f32_e32 v8, v9, v8
	v_mov_b32_e32 v9, v24
	v_add_f32_e32 v18, v98, v18
	v_fmac_f32_e32 v99, 0x3f0a6770, v43
	v_fmac_f32_e32 v109, 0xbf0a6770, v20
	;; [unrolled: 1-line block ×3, first 2 shown]
	v_add_f32_e32 v19, v99, v18
	v_fma_f32 v18, v44, s7, -v100
	v_add_f32_e32 v20, v209, v109
	v_add_f32_e32 v8, v9, v8
	v_mov_b32_e32 v9, v32
	v_add_f32_e32 v18, v208, v18
	v_fma_f32 v22, v47, s13, -v101
	v_add_f32_e32 v20, v110, v20
	v_fmac_f32_e32 v24, 0xbf7d64f0, v29
	v_fmac_f32_e32 v9, 0x3f4178ce, v36
	v_mul_f32_e32 v39, 0xbf75a155, v39
	v_add_f32_e32 v18, v22, v18
	v_fma_f32 v22, v50, s14, -v102
	v_add_f32_e32 v20, v24, v20
	v_fmac_f32_e32 v32, 0xbf4178ce, v36
	v_add_f32_e32 v8, v9, v8
	v_mov_b32_e32 v9, v39
	v_mul_f32_e32 v45, 0xbf0a6770, v45
	v_add_f32_e32 v18, v22, v18
	v_fma_f32 v22, v53, s12, -v103
	v_add_f32_e32 v20, v32, v20
	v_fmac_f32_e32 v39, 0xbe903f40, v43
	v_add_f32_e32 v18, v22, v18
	v_fma_f32 v22, v56, s6, -v108
	v_add_f32_e32 v21, v39, v20
	v_fma_f32 v20, v44, s6, -v45
	v_mul_f32_e32 v51, 0xbf7d64f0, v51
	v_add_f32_e32 v18, v22, v18
	v_add_f32_e32 v20, v208, v20
	v_fma_f32 v22, v47, s7, -v48
	v_mul_f32_e32 v54, 0xbf4178ce, v54
	v_add_f32_e32 v20, v22, v20
	v_fma_f32 v22, v50, s12, -v51
	v_mul_f32_e32 v57, 0xbe903f40, v57
	v_add_f32_e32 v20, v22, v20
	v_fma_f32 v22, v53, s13, -v54
	v_add_f32_e32 v20, v22, v20
	v_fma_f32 v22, v56, s14, -v57
	v_add_f32_e32 v20, v22, v20
	buffer_load_dword v22, off, s[20:23], 0 offset:364 ; 4-byte Folded Reload
	buffer_load_dword v23, off, s[20:23], 0 offset:368 ; 4-byte Folded Reload
	v_fmac_f32_e32 v9, 0x3e903f40, v43
	v_add_f32_e32 v9, v9, v8
	v_mov_b32_e32 v8, v45
	v_fmac_f32_e32 v8, 0x3f575c64, v44
	v_add_f32_e32 v8, v208, v8
	v_add_f32_e32 v8, v111, v8
	v_mov_b32_e32 v111, v51
	v_fmac_f32_e32 v111, 0xbe11bafb, v50
	v_add_f32_e32 v8, v111, v8
	v_mov_b32_e32 v111, v54
	v_fmac_f32_e32 v111, 0xbf27a4f4, v53
	;; [unrolled: 3-line block ×3, first 2 shown]
	v_add_f32_e32 v8, v111, v8
	s_waitcnt vmcnt(1)
	v_mul_u32_u24_e32 v22, 0x4d, v22
	s_waitcnt vmcnt(0)
	v_add_lshl_u32 v22, v22, v23, 3
	ds_write2_b64 v22, v[10:11], v[8:9] offset1:7
	ds_write2_b64 v22, v[6:7], v[4:5] offset0:14 offset1:21
	ds_write2_b64 v22, v[2:3], v[0:1] offset0:28 offset1:35
	;; [unrolled: 1-line block ×4, first 2 shown]
	ds_write_b64 v22, v[20:21] offset:560
.LBB0_9:
	s_or_b64 exec, exec, s[4:5]
	v_add_u32_e32 v28, 0x800, v26
	buffer_load_dword v208, off, s[20:23], 0 offset:200 ; 4-byte Folded Reload
	buffer_load_dword v209, off, s[20:23], 0 offset:204 ; 4-byte Folded Reload
	s_waitcnt lgkmcnt(0)
	; wave barrier
	s_waitcnt lgkmcnt(0)
	ds_read2_b64 v[0:3], v28 offset0:74 offset1:129
	v_add_u32_e32 v34, 0x1800, v26
	ds_read2_b64 v[12:15], v34 offset0:2 offset1:57
	v_add_u32_e32 v30, 0x2000, v26
	ds_read2_b64 v[18:21], v30 offset0:76 offset1:131
	s_waitcnt lgkmcnt(2)
	v_mul_f32_e32 v60, v85, v3
	v_fmac_f32_e32 v60, v84, v2
	v_mul_f32_e32 v2, v85, v2
	v_fma_f32 v61, v84, v3, -v2
	s_waitcnt lgkmcnt(1)
	v_mul_f32_e32 v2, v87, v12
	v_add_u32_e32 v27, 0x3000, v26
	v_fma_f32 v63, v86, v13, -v2
	s_waitcnt lgkmcnt(0)
	v_mul_f32_e32 v2, v81, v20
	ds_read2_b64 v[8:11], v26 offset1:55
	ds_read2_b64 v[22:25], v27 offset0:4 offset1:59
	ds_read2_b64 v[36:39], v28 offset0:184 offset1:239
	;; [unrolled: 1-line block ×6, first 2 shown]
	v_fma_f32 v65, v80, v21, -v2
	s_waitcnt lgkmcnt(5)
	v_mul_f32_e32 v2, v83, v22
	v_fma_f32 v67, v82, v23, -v2
	v_mul_f32_e32 v2, v95, v14
	v_fma_f32 v70, v94, v15, -v2
	s_waitcnt lgkmcnt(4)
	v_mul_f32_e32 v2, v93, v36
	v_fma_f32 v71, v92, v37, -v2
	v_mul_f32_e32 v2, v91, v24
	v_add_u32_e32 v32, 0x1000, v26
	v_fma_f32 v73, v90, v25, -v2
	s_waitcnt lgkmcnt(3)
	v_mul_f32_e32 v2, v89, v40
	ds_read2_b64 v[52:55], v32 offset0:38 offset1:93
	v_fma_f32 v75, v88, v41, -v2
	v_mul_f32_e32 v2, v113, v38
	v_add_u32_e32 v33, 0x2800, v26
	v_mul_f32_e32 v64, v81, v21
	v_mul_f32_e32 v66, v83, v23
	v_add_u32_e32 v29, 0x1c00, v26
	v_fma_f32 v77, v112, v39, -v2
	s_waitcnt lgkmcnt(2)
	v_mul_f32_e32 v2, v115, v44
	ds_read2_b64 v[56:59], v33 offset0:40 offset1:95
	v_fmac_f32_e32 v64, v80, v20
	v_fmac_f32_e32 v66, v82, v22
	ds_read2_b64 v[20:23], v29 offset0:94 offset1:149
	v_fma_f32 v79, v114, v45, -v2
	v_mul_f32_e32 v2, v105, v42
	v_fma_f32 v81, v104, v43, -v2
	s_waitcnt lgkmcnt(3)
	v_mul_f32_e32 v2, v107, v48
	v_mul_f32_e32 v68, v93, v37
	;; [unrolled: 1-line block ×3, first 2 shown]
	v_add_u32_e32 v31, 0x3400, v26
	v_fma_f32 v83, v106, v49, -v2
	v_mul_f32_e32 v2, v127, v46
	v_fmac_f32_e32 v68, v92, v36
	v_mul_f32_e32 v74, v89, v41
	v_fmac_f32_e32 v76, v112, v38
	v_mul_f32_e32 v80, v105, v43
	ds_read2_b64 v[36:39], v31 offset0:96 offset1:151
	v_fma_f32 v85, v126, v47, -v2
	s_waitcnt lgkmcnt(3)
	v_mul_f32_e32 v2, v125, v52
	v_mul_f32_e32 v62, v87, v13
	;; [unrolled: 1-line block ×3, first 2 shown]
	v_fmac_f32_e32 v74, v88, v40
	v_fmac_f32_e32 v80, v104, v42
	ds_read2_b64 v[40:43], v32 offset0:148 offset1:203
	v_fma_f32 v87, v124, v53, -v2
	v_mul_f32_e32 v2, v123, v50
	v_fmac_f32_e32 v69, v94, v14
	v_mul_f32_e32 v78, v115, v45
	v_mul_f32_e32 v84, v127, v47
	v_fma_f32 v89, v122, v51, -v2
	s_waitcnt lgkmcnt(3)
	v_mul_f32_e32 v2, v121, v56
	s_waitcnt lgkmcnt(2)
	v_mul_f32_e32 v94, v135, v21
	v_mul_f32_e32 v72, v91, v25
	v_fmac_f32_e32 v78, v114, v44
	v_fmac_f32_e32 v84, v126, v46
	ds_read2_b64 v[44:47], v33 offset0:150 offset1:205
	v_fma_f32 v91, v120, v57, -v2
	ds_read_b64 v[2:3], v26 offset:14960
	v_fmac_f32_e32 v94, v134, v20
	v_mul_f32_e32 v20, v135, v20
	v_fma_f32 v95, v134, v21, -v20
	v_mul_f32_e32 v20, v129, v58
	v_fma_f32 v97, v128, v59, -v20
	s_waitcnt lgkmcnt(3)
	v_mul_f32_e32 v20, v131, v36
	v_fma_f32 v99, v130, v37, -v20
	s_waitcnt lgkmcnt(2)
	v_mul_f32_e32 v20, v141, v40
	v_fma_f32 v101, v140, v41, -v20
	v_mul_f32_e32 v20, v143, v22
	v_mul_f32_e32 v100, v141, v41
	v_fma_f32 v103, v142, v23, -v20
	s_waitcnt lgkmcnt(1)
	v_mul_f32_e32 v20, v137, v44
	s_waitcnt lgkmcnt(0)
	v_mul_f32_e32 v41, v147, v3
	v_mul_f32_e32 v82, v107, v49
	v_fma_f32 v105, v136, v45, -v20
	v_mul_f32_e32 v20, v139, v38
	v_fmac_f32_e32 v41, v146, v2
	v_mul_f32_e32 v2, v147, v2
	v_fmac_f32_e32 v62, v86, v12
	v_fmac_f32_e32 v82, v106, v48
	v_mul_f32_e32 v98, v131, v37
	v_mul_f32_e32 v106, v139, v39
	v_fma_f32 v107, v138, v39, -v20
	v_mul_f32_e32 v39, v151, v19
	v_fma_f32 v37, v146, v3, -v2
	v_add_f32_e32 v2, v8, v60
	v_fmac_f32_e32 v39, v150, v18
	v_mul_f32_e32 v18, v151, v18
	v_add_f32_e32 v2, v2, v62
	v_fma_f32 v25, v150, v19, -v18
	v_mul_f32_e32 v18, v145, v46
	v_add_f32_e32 v2, v2, v64
	v_fmac_f32_e32 v98, v130, v36
	v_fma_f32 v36, v144, v47, -v18
	v_add_f32_e32 v18, v2, v66
	v_add_f32_e32 v2, v62, v64
	v_fmac_f32_e32 v72, v90, v24
	v_mul_f32_e32 v24, v133, v54
	v_mul_f32_e32 v20, v149, v42
	v_fma_f32 v2, -0.5, v2, v8
	v_fma_f32 v93, v132, v55, -v24
	v_mul_f32_e32 v102, v143, v23
	v_fma_f32 v24, v148, v43, -v20
	v_sub_f32_e32 v3, v61, v67
	v_mov_b32_e32 v20, v2
	v_fmac_f32_e32 v102, v142, v22
	v_fmac_f32_e32 v20, 0xbf737871, v3
	v_sub_f32_e32 v19, v63, v65
	v_sub_f32_e32 v21, v60, v62
	;; [unrolled: 1-line block ×3, first 2 shown]
	v_fmac_f32_e32 v2, 0x3f737871, v3
	v_fmac_f32_e32 v20, 0xbf167918, v19
	v_add_f32_e32 v21, v21, v22
	v_fmac_f32_e32 v2, 0x3f167918, v19
	v_fmac_f32_e32 v20, 0x3e9e377a, v21
	v_fmac_f32_e32 v2, 0x3e9e377a, v21
	v_add_f32_e32 v21, v60, v66
	v_fma_f32 v8, -0.5, v21, v8
	v_mov_b32_e32 v22, v8
	v_fmac_f32_e32 v22, 0x3f737871, v19
	v_fmac_f32_e32 v8, 0xbf737871, v19
	;; [unrolled: 1-line block ×4, first 2 shown]
	v_add_f32_e32 v3, v9, v61
	v_add_f32_e32 v3, v3, v63
	;; [unrolled: 1-line block ×3, first 2 shown]
	v_sub_f32_e32 v21, v62, v60
	v_sub_f32_e32 v23, v64, v66
	v_add_f32_e32 v19, v3, v67
	v_add_f32_e32 v3, v63, v65
	v_fmac_f32_e32 v106, v138, v38
	v_mul_f32_e32 v38, v149, v43
	v_add_f32_e32 v21, v21, v23
	v_fma_f32 v3, -0.5, v3, v9
	v_mul_f32_e32 v104, v137, v45
	v_fmac_f32_e32 v38, v148, v42
	v_fmac_f32_e32 v22, 0x3e9e377a, v21
	;; [unrolled: 1-line block ×3, first 2 shown]
	v_sub_f32_e32 v42, v60, v66
	v_mov_b32_e32 v21, v3
	v_fmac_f32_e32 v104, v136, v44
	v_fmac_f32_e32 v21, 0x3f737871, v42
	v_sub_f32_e32 v43, v62, v64
	v_sub_f32_e32 v23, v61, v63
	;; [unrolled: 1-line block ×3, first 2 shown]
	v_fmac_f32_e32 v3, 0xbf737871, v42
	v_fmac_f32_e32 v21, 0x3f167918, v43
	v_add_f32_e32 v23, v23, v44
	v_fmac_f32_e32 v3, 0xbf167918, v43
	v_fmac_f32_e32 v21, 0x3e9e377a, v23
	;; [unrolled: 1-line block ×3, first 2 shown]
	v_add_f32_e32 v23, v61, v67
	v_fma_f32 v9, -0.5, v23, v9
	v_mov_b32_e32 v23, v9
	v_fmac_f32_e32 v23, 0xbf737871, v43
	v_sub_f32_e32 v44, v63, v61
	v_sub_f32_e32 v45, v65, v67
	v_fmac_f32_e32 v9, 0x3f737871, v43
	v_add_u32_e32 v35, 0x400, v26
	v_fmac_f32_e32 v23, 0x3f167918, v42
	v_add_f32_e32 v44, v44, v45
	v_fmac_f32_e32 v9, 0xbf167918, v42
	ds_read2_b64 v[12:15], v35 offset0:92 offset1:147
	v_fmac_f32_e32 v23, 0x3e9e377a, v44
	v_fmac_f32_e32 v9, 0x3e9e377a, v44
	s_waitcnt lgkmcnt(0)
	; wave barrier
	s_waitcnt lgkmcnt(0)
	ds_write2_b64 v26, v[18:19], v[20:21] offset1:77
	ds_write2_b64 v26, v[22:23], v[8:9] offset0:154 offset1:231
	ds_write_b64 v26, v[2:3] offset:2464
	buffer_load_dword v2, off, s[20:23], 0 offset:452 ; 4-byte Folded Reload
	v_add_f32_e32 v43, v69, v74
	v_fmac_f32_e32 v100, v140, v40
	v_mul_f32_e32 v40, v145, v47
	v_fma_f32 v44, -0.5, v43, v10
	v_fmac_f32_e32 v40, v144, v46
	v_sub_f32_e32 v43, v71, v73
	v_mov_b32_e32 v46, v44
	v_fmac_f32_e32 v46, 0xbf737871, v43
	v_sub_f32_e32 v45, v70, v75
	v_sub_f32_e32 v47, v68, v69
	;; [unrolled: 1-line block ×3, first 2 shown]
	v_fmac_f32_e32 v44, 0x3f737871, v43
	v_fmac_f32_e32 v46, 0xbf167918, v45
	v_add_f32_e32 v47, v47, v48
	v_fmac_f32_e32 v44, 0x3f167918, v45
	v_fmac_f32_e32 v46, 0x3e9e377a, v47
	;; [unrolled: 1-line block ×3, first 2 shown]
	v_add_f32_e32 v47, v68, v72
	v_add_f32_e32 v42, v10, v68
	v_fma_f32 v10, -0.5, v47, v10
	v_mov_b32_e32 v48, v10
	v_fmac_f32_e32 v48, 0x3f737871, v45
	v_sub_f32_e32 v47, v69, v68
	v_sub_f32_e32 v49, v74, v72
	v_fmac_f32_e32 v10, 0xbf737871, v45
	v_add_f32_e32 v45, v70, v75
	v_mul_f32_e32 v88, v123, v51
	v_fmac_f32_e32 v48, 0xbf167918, v43
	v_add_f32_e32 v47, v47, v49
	v_fmac_f32_e32 v10, 0x3f167918, v43
	v_fma_f32 v45, -0.5, v45, v11
	v_mul_f32_e32 v86, v125, v53
	v_fmac_f32_e32 v88, v122, v50
	v_fmac_f32_e32 v48, 0x3e9e377a, v47
	;; [unrolled: 1-line block ×3, first 2 shown]
	v_sub_f32_e32 v50, v68, v72
	v_mov_b32_e32 v47, v45
	v_fmac_f32_e32 v86, v124, v52
	v_fmac_f32_e32 v47, 0x3f737871, v50
	v_sub_f32_e32 v51, v69, v74
	v_sub_f32_e32 v49, v71, v70
	;; [unrolled: 1-line block ×3, first 2 shown]
	v_fmac_f32_e32 v45, 0xbf737871, v50
	v_fmac_f32_e32 v47, 0x3f167918, v51
	v_add_f32_e32 v49, v49, v52
	v_fmac_f32_e32 v45, 0xbf167918, v51
	v_fmac_f32_e32 v47, 0x3e9e377a, v49
	;; [unrolled: 1-line block ×3, first 2 shown]
	v_add_f32_e32 v49, v71, v73
	v_add_f32_e32 v43, v11, v71
	v_fmac_f32_e32 v11, -0.5, v49
	v_add_f32_e32 v42, v42, v69
	v_add_f32_e32 v43, v43, v70
	v_mov_b32_e32 v49, v11
	v_add_f32_e32 v42, v42, v74
	v_add_f32_e32 v43, v43, v75
	v_fmac_f32_e32 v49, 0xbf737871, v51
	v_sub_f32_e32 v52, v70, v71
	v_sub_f32_e32 v53, v75, v73
	v_fmac_f32_e32 v11, 0x3f737871, v51
	v_add_f32_e32 v42, v42, v72
	v_add_f32_e32 v43, v43, v73
	v_fmac_f32_e32 v49, 0x3f167918, v50
	v_add_f32_e32 v52, v52, v53
	v_fmac_f32_e32 v11, 0xbf167918, v50
	v_fmac_f32_e32 v49, 0x3e9e377a, v52
	;; [unrolled: 1-line block ×3, first 2 shown]
	s_waitcnt vmcnt(0)
	ds_write2_b64 v2, v[42:43], v[46:47] offset1:77
	ds_write2_b64 v2, v[48:49], v[10:11] offset0:154 offset1:231
	ds_write_b64 v2, v[44:45] offset:2464
	buffer_load_dword v2, off, s[20:23], 0 offset:456 ; 4-byte Folded Reload
	v_add_f32_e32 v51, v78, v80
	v_mul_f32_e32 v92, v133, v55
	v_fma_f32 v52, -0.5, v51, v4
	v_mul_f32_e32 v90, v121, v57
	v_fmac_f32_e32 v92, v132, v54
	v_sub_f32_e32 v51, v77, v83
	v_mov_b32_e32 v54, v52
	v_fmac_f32_e32 v90, v120, v56
	v_fmac_f32_e32 v54, 0xbf737871, v51
	v_sub_f32_e32 v53, v79, v81
	v_sub_f32_e32 v55, v76, v78
	;; [unrolled: 1-line block ×3, first 2 shown]
	v_fmac_f32_e32 v52, 0x3f737871, v51
	v_fmac_f32_e32 v54, 0xbf167918, v53
	v_add_f32_e32 v55, v55, v56
	v_fmac_f32_e32 v52, 0x3f167918, v53
	v_fmac_f32_e32 v54, 0x3e9e377a, v55
	;; [unrolled: 1-line block ×3, first 2 shown]
	v_add_f32_e32 v55, v76, v82
	v_add_f32_e32 v50, v4, v76
	v_fma_f32 v4, -0.5, v55, v4
	v_mov_b32_e32 v56, v4
	v_fmac_f32_e32 v56, 0x3f737871, v53
	v_sub_f32_e32 v55, v78, v76
	v_sub_f32_e32 v57, v80, v82
	v_fmac_f32_e32 v4, 0xbf737871, v53
	v_add_f32_e32 v53, v79, v81
	v_mul_f32_e32 v96, v129, v59
	v_fmac_f32_e32 v56, 0xbf167918, v51
	v_add_f32_e32 v55, v55, v57
	v_fmac_f32_e32 v4, 0x3f167918, v51
	v_fma_f32 v53, -0.5, v53, v5
	v_fmac_f32_e32 v96, v128, v58
	v_fmac_f32_e32 v56, 0x3e9e377a, v55
	;; [unrolled: 1-line block ×3, first 2 shown]
	v_sub_f32_e32 v58, v76, v82
	v_mov_b32_e32 v55, v53
	v_fmac_f32_e32 v55, 0x3f737871, v58
	v_sub_f32_e32 v59, v78, v80
	v_sub_f32_e32 v57, v77, v79
	;; [unrolled: 1-line block ×3, first 2 shown]
	v_fmac_f32_e32 v53, 0xbf737871, v58
	v_fmac_f32_e32 v55, 0x3f167918, v59
	v_add_f32_e32 v57, v57, v60
	v_fmac_f32_e32 v53, 0xbf167918, v59
	v_fmac_f32_e32 v55, 0x3e9e377a, v57
	;; [unrolled: 1-line block ×3, first 2 shown]
	v_add_f32_e32 v57, v77, v83
	v_add_f32_e32 v51, v5, v77
	v_fma_f32 v5, -0.5, v57, v5
	v_add_f32_e32 v50, v50, v78
	v_add_f32_e32 v51, v51, v79
	v_mov_b32_e32 v57, v5
	v_add_f32_e32 v50, v50, v80
	v_add_f32_e32 v51, v51, v81
	v_fmac_f32_e32 v57, 0xbf737871, v59
	v_sub_f32_e32 v60, v79, v77
	v_sub_f32_e32 v61, v81, v83
	v_fmac_f32_e32 v5, 0x3f737871, v59
	v_add_f32_e32 v50, v50, v82
	v_add_f32_e32 v51, v51, v83
	v_fmac_f32_e32 v57, 0x3f167918, v58
	v_add_f32_e32 v60, v60, v61
	v_fmac_f32_e32 v5, 0xbf167918, v58
	v_fmac_f32_e32 v57, 0x3e9e377a, v60
	v_fmac_f32_e32 v5, 0x3e9e377a, v60
	s_waitcnt vmcnt(0)
	ds_write2_b64 v2, v[50:51], v[54:55] offset1:77
	ds_write2_b64 v2, v[56:57], v[4:5] offset0:154 offset1:231
	ds_write_b64 v2, v[52:53] offset:2464
	buffer_load_dword v3, off, s[20:23], 0 offset:460 ; 4-byte Folded Reload
	v_add_f32_e32 v59, v84, v90
	v_fma_f32 v60, -0.5, v59, v6
	v_sub_f32_e32 v59, v87, v89
	v_mov_b32_e32 v62, v60
	v_fmac_f32_e32 v62, 0xbf737871, v59
	v_sub_f32_e32 v61, v85, v91
	v_sub_f32_e32 v63, v86, v84
	;; [unrolled: 1-line block ×3, first 2 shown]
	v_fmac_f32_e32 v60, 0x3f737871, v59
	v_fmac_f32_e32 v62, 0xbf167918, v61
	v_add_f32_e32 v63, v63, v64
	v_fmac_f32_e32 v60, 0x3f167918, v61
	v_fmac_f32_e32 v62, 0x3e9e377a, v63
	;; [unrolled: 1-line block ×3, first 2 shown]
	v_add_f32_e32 v63, v86, v88
	v_add_f32_e32 v58, v6, v86
	v_fma_f32 v6, -0.5, v63, v6
	v_mov_b32_e32 v64, v6
	v_fmac_f32_e32 v64, 0x3f737871, v61
	v_sub_f32_e32 v63, v84, v86
	v_sub_f32_e32 v65, v90, v88
	v_fmac_f32_e32 v6, 0xbf737871, v61
	v_add_f32_e32 v61, v85, v91
	v_fmac_f32_e32 v64, 0xbf167918, v59
	v_add_f32_e32 v63, v63, v65
	v_fmac_f32_e32 v6, 0x3f167918, v59
	v_fma_f32 v61, -0.5, v61, v7
	v_fmac_f32_e32 v64, 0x3e9e377a, v63
	v_fmac_f32_e32 v6, 0x3e9e377a, v63
	v_sub_f32_e32 v66, v86, v88
	v_mov_b32_e32 v63, v61
	v_fmac_f32_e32 v63, 0x3f737871, v66
	v_sub_f32_e32 v67, v84, v90
	v_sub_f32_e32 v65, v87, v85
	;; [unrolled: 1-line block ×3, first 2 shown]
	v_fmac_f32_e32 v61, 0xbf737871, v66
	v_fmac_f32_e32 v63, 0x3f167918, v67
	v_add_f32_e32 v65, v65, v68
	v_fmac_f32_e32 v61, 0xbf167918, v67
	v_fmac_f32_e32 v63, 0x3e9e377a, v65
	;; [unrolled: 1-line block ×3, first 2 shown]
	v_add_f32_e32 v65, v87, v89
	v_add_f32_e32 v59, v7, v87
	v_fmac_f32_e32 v7, -0.5, v65
	v_add_f32_e32 v58, v58, v84
	v_add_f32_e32 v59, v59, v85
	v_mov_b32_e32 v65, v7
	v_add_f32_e32 v58, v58, v90
	v_add_f32_e32 v59, v59, v91
	v_fmac_f32_e32 v65, 0xbf737871, v67
	v_sub_f32_e32 v68, v85, v87
	v_sub_f32_e32 v69, v91, v89
	v_fmac_f32_e32 v7, 0x3f737871, v67
	v_add_f32_e32 v58, v58, v88
	v_add_f32_e32 v59, v59, v89
	v_fmac_f32_e32 v65, 0x3f167918, v66
	v_add_f32_e32 v68, v68, v69
	v_fmac_f32_e32 v7, 0xbf167918, v66
	v_fmac_f32_e32 v65, 0x3e9e377a, v68
	;; [unrolled: 1-line block ×3, first 2 shown]
	v_add_f32_e32 v67, v94, v96
	v_fma_f32 v68, -0.5, v67, v12
	v_sub_f32_e32 v67, v93, v99
	v_mov_b32_e32 v70, v68
	v_fmac_f32_e32 v70, 0xbf737871, v67
	v_sub_f32_e32 v69, v95, v97
	v_sub_f32_e32 v71, v92, v94
	;; [unrolled: 1-line block ×3, first 2 shown]
	v_fmac_f32_e32 v68, 0x3f737871, v67
	v_fmac_f32_e32 v70, 0xbf167918, v69
	v_add_f32_e32 v71, v71, v72
	v_fmac_f32_e32 v68, 0x3f167918, v69
	v_fmac_f32_e32 v70, 0x3e9e377a, v71
	;; [unrolled: 1-line block ×3, first 2 shown]
	v_add_f32_e32 v71, v92, v98
	v_add_f32_e32 v66, v12, v92
	v_fma_f32 v12, -0.5, v71, v12
	v_mov_b32_e32 v72, v12
	v_fmac_f32_e32 v72, 0x3f737871, v69
	s_waitcnt vmcnt(0)
	v_add_u32_e32 v2, 0x1800, v3
	ds_write2_b64 v2, v[58:59], v[62:63] offset0:2 offset1:79
	ds_write2_b64 v2, v[64:65], v[6:7] offset0:156 offset1:233
	ds_write_b64 v3, v[60:61] offset:8624
	buffer_load_dword v2, off, s[20:23], 0 offset:464 ; 4-byte Folded Reload
	v_sub_f32_e32 v71, v94, v92
	v_sub_f32_e32 v73, v96, v98
	v_fmac_f32_e32 v12, 0xbf737871, v69
	v_add_f32_e32 v69, v95, v97
	v_fmac_f32_e32 v72, 0xbf167918, v67
	v_add_f32_e32 v71, v71, v73
	v_fmac_f32_e32 v12, 0x3f167918, v67
	v_fma_f32 v69, -0.5, v69, v13
	v_fmac_f32_e32 v72, 0x3e9e377a, v71
	v_fmac_f32_e32 v12, 0x3e9e377a, v71
	v_sub_f32_e32 v74, v92, v98
	v_mov_b32_e32 v71, v69
	v_fmac_f32_e32 v71, 0x3f737871, v74
	v_sub_f32_e32 v75, v94, v96
	v_sub_f32_e32 v73, v93, v95
	;; [unrolled: 1-line block ×3, first 2 shown]
	v_fmac_f32_e32 v69, 0xbf737871, v74
	v_fmac_f32_e32 v71, 0x3f167918, v75
	v_add_f32_e32 v73, v73, v76
	v_fmac_f32_e32 v69, 0xbf167918, v75
	v_fmac_f32_e32 v71, 0x3e9e377a, v73
	;; [unrolled: 1-line block ×3, first 2 shown]
	v_add_f32_e32 v73, v93, v99
	v_add_f32_e32 v67, v13, v93
	v_fma_f32 v13, -0.5, v73, v13
	v_add_f32_e32 v66, v66, v94
	v_add_f32_e32 v67, v67, v95
	v_mov_b32_e32 v73, v13
	v_add_f32_e32 v66, v66, v96
	v_add_f32_e32 v67, v67, v97
	v_fmac_f32_e32 v73, 0xbf737871, v75
	v_sub_f32_e32 v76, v95, v93
	v_sub_f32_e32 v77, v97, v99
	v_fmac_f32_e32 v13, 0x3f737871, v75
	v_add_f32_e32 v66, v66, v98
	v_add_f32_e32 v67, v67, v99
	v_fmac_f32_e32 v73, 0x3f167918, v74
	v_add_f32_e32 v76, v76, v77
	v_fmac_f32_e32 v13, 0xbf167918, v74
	v_fmac_f32_e32 v73, 0x3e9e377a, v76
	;; [unrolled: 1-line block ×3, first 2 shown]
	s_waitcnt vmcnt(0)
	ds_write2_b64 v2, v[66:67], v[70:71] offset1:77
	ds_write2_b64 v2, v[72:73], v[12:13] offset0:154 offset1:231
	ds_write_b64 v2, v[68:69] offset:2464
	buffer_load_dword v2, off, s[20:23], 0 offset:468 ; 4-byte Folded Reload
	v_add_f32_e32 v75, v102, v104
	v_fma_f32 v76, -0.5, v75, v14
	v_sub_f32_e32 v75, v101, v107
	v_mov_b32_e32 v78, v76
	v_fmac_f32_e32 v78, 0xbf737871, v75
	v_sub_f32_e32 v77, v103, v105
	v_sub_f32_e32 v79, v100, v102
	;; [unrolled: 1-line block ×3, first 2 shown]
	v_fmac_f32_e32 v76, 0x3f737871, v75
	v_fmac_f32_e32 v78, 0xbf167918, v77
	v_add_f32_e32 v79, v79, v80
	v_fmac_f32_e32 v76, 0x3f167918, v77
	v_fmac_f32_e32 v78, 0x3e9e377a, v79
	;; [unrolled: 1-line block ×3, first 2 shown]
	v_add_f32_e32 v79, v100, v106
	v_add_f32_e32 v74, v14, v100
	v_fma_f32 v14, -0.5, v79, v14
	v_mov_b32_e32 v80, v14
	v_fmac_f32_e32 v80, 0x3f737871, v77
	v_sub_f32_e32 v79, v102, v100
	v_sub_f32_e32 v81, v104, v106
	v_fmac_f32_e32 v14, 0xbf737871, v77
	v_add_f32_e32 v77, v103, v105
	v_fmac_f32_e32 v80, 0xbf167918, v75
	v_add_f32_e32 v79, v79, v81
	v_fmac_f32_e32 v14, 0x3f167918, v75
	v_fma_f32 v77, -0.5, v77, v15
	v_fmac_f32_e32 v80, 0x3e9e377a, v79
	v_fmac_f32_e32 v14, 0x3e9e377a, v79
	v_sub_f32_e32 v82, v100, v106
	v_mov_b32_e32 v79, v77
	v_fmac_f32_e32 v79, 0x3f737871, v82
	v_sub_f32_e32 v83, v102, v104
	v_sub_f32_e32 v81, v101, v103
	;; [unrolled: 1-line block ×3, first 2 shown]
	v_fmac_f32_e32 v77, 0xbf737871, v82
	v_fmac_f32_e32 v79, 0x3f167918, v83
	v_add_f32_e32 v81, v81, v84
	v_fmac_f32_e32 v77, 0xbf167918, v83
	v_fmac_f32_e32 v79, 0x3e9e377a, v81
	;; [unrolled: 1-line block ×3, first 2 shown]
	v_add_f32_e32 v81, v101, v107
	v_add_f32_e32 v75, v15, v101
	v_fmac_f32_e32 v15, -0.5, v81
	v_add_f32_e32 v74, v74, v102
	v_add_f32_e32 v75, v75, v103
	v_mov_b32_e32 v81, v15
	v_add_f32_e32 v74, v74, v104
	v_add_f32_e32 v75, v75, v105
	v_fmac_f32_e32 v81, 0xbf737871, v83
	v_sub_f32_e32 v84, v103, v101
	v_sub_f32_e32 v85, v105, v107
	v_fmac_f32_e32 v15, 0x3f737871, v83
	v_add_f32_e32 v74, v74, v106
	v_add_f32_e32 v75, v75, v107
	v_fmac_f32_e32 v81, 0x3f167918, v82
	v_add_f32_e32 v84, v84, v85
	v_fmac_f32_e32 v15, 0xbf167918, v82
	v_fmac_f32_e32 v81, 0x3e9e377a, v84
	;; [unrolled: 1-line block ×3, first 2 shown]
	s_waitcnt vmcnt(0)
	ds_write2_b64 v2, v[74:75], v[78:79] offset1:77
	ds_write2_b64 v2, v[80:81], v[14:15] offset0:154 offset1:231
	ds_write_b64 v2, v[76:77] offset:2464
	buffer_load_dword v3, off, s[20:23], 0 offset:472 ; 4-byte Folded Reload
	v_add_f32_e32 v83, v39, v40
	v_fma_f32 v84, -0.5, v83, v0
	v_sub_f32_e32 v83, v24, v37
	v_mov_b32_e32 v86, v84
	v_fmac_f32_e32 v86, 0xbf737871, v83
	v_sub_f32_e32 v85, v25, v36
	v_sub_f32_e32 v87, v38, v39
	;; [unrolled: 1-line block ×3, first 2 shown]
	v_fmac_f32_e32 v84, 0x3f737871, v83
	v_fmac_f32_e32 v86, 0xbf167918, v85
	v_add_f32_e32 v87, v87, v88
	v_fmac_f32_e32 v84, 0x3f167918, v85
	v_fmac_f32_e32 v86, 0x3e9e377a, v87
	;; [unrolled: 1-line block ×3, first 2 shown]
	v_add_f32_e32 v87, v38, v41
	v_add_f32_e32 v82, v0, v38
	v_fma_f32 v0, -0.5, v87, v0
	v_mov_b32_e32 v88, v0
	v_fmac_f32_e32 v88, 0x3f737871, v85
	v_sub_f32_e32 v87, v39, v38
	v_sub_f32_e32 v89, v40, v41
	v_fmac_f32_e32 v0, 0xbf737871, v85
	v_add_f32_e32 v85, v25, v36
	v_add_f32_e32 v82, v82, v39
	v_fmac_f32_e32 v88, 0xbf167918, v83
	v_add_f32_e32 v87, v87, v89
	v_fmac_f32_e32 v0, 0x3f167918, v83
	v_fma_f32 v85, -0.5, v85, v1
	v_add_f32_e32 v82, v82, v40
	v_fmac_f32_e32 v88, 0x3e9e377a, v87
	v_fmac_f32_e32 v0, 0x3e9e377a, v87
	v_sub_f32_e32 v38, v38, v41
	v_mov_b32_e32 v87, v85
	v_add_f32_e32 v82, v82, v41
	v_fmac_f32_e32 v87, 0x3f737871, v38
	v_sub_f32_e32 v39, v39, v40
	v_sub_f32_e32 v40, v24, v25
	;; [unrolled: 1-line block ×3, first 2 shown]
	v_fmac_f32_e32 v85, 0xbf737871, v38
	v_fmac_f32_e32 v87, 0x3f167918, v39
	v_add_f32_e32 v40, v40, v41
	v_fmac_f32_e32 v85, 0xbf167918, v39
	v_fmac_f32_e32 v87, 0x3e9e377a, v40
	;; [unrolled: 1-line block ×3, first 2 shown]
	v_add_f32_e32 v40, v24, v37
	v_add_f32_e32 v83, v1, v24
	v_fmac_f32_e32 v1, -0.5, v40
	v_add_f32_e32 v83, v83, v25
	v_mov_b32_e32 v89, v1
	v_sub_f32_e32 v24, v25, v24
	v_sub_f32_e32 v25, v36, v37
	v_fmac_f32_e32 v1, 0x3f737871, v39
	v_add_f32_e32 v83, v83, v36
	v_fmac_f32_e32 v89, 0xbf737871, v39
	v_add_f32_e32 v24, v24, v25
	;; [unrolled: 2-line block ×3, first 2 shown]
	v_fmac_f32_e32 v89, 0x3f167918, v38
	v_fmac_f32_e32 v1, 0x3e9e377a, v24
	;; [unrolled: 1-line block ×3, first 2 shown]
	v_mad_u64_u32 v[16:17], s[0:1], s10, v208, 0
	s_waitcnt vmcnt(0)
	v_add_u32_e32 v2, 0x3000, v3
	ds_write2_b64 v2, v[82:83], v[86:87] offset0:4 offset1:81
	ds_write2_b64 v2, v[88:89], v[0:1] offset0:158 offset1:235
	ds_write_b64 v3, v[84:85] offset:14784
	s_waitcnt lgkmcnt(0)
	; wave barrier
	s_waitcnt lgkmcnt(0)
	ds_read2_b64 v[8:11], v26 offset1:55
	ds_read2_b64 v[0:3], v28 offset0:74 offset1:129
	ds_read2_b64 v[18:21], v34 offset0:2 offset1:57
	;; [unrolled: 1-line block ×16, first 2 shown]
	ds_read_b64 v[80:81], v26 offset:14960
	s_waitcnt lgkmcnt(14)
	v_mul_f32_e32 v82, v157, v3
	v_fmac_f32_e32 v82, v156, v2
	v_mul_f32_e32 v2, v157, v2
	v_fma_f32 v83, v156, v3, -v2
	v_mul_f32_e32 v2, v159, v18
	v_fma_f32 v85, v158, v19, -v2
	v_mul_f32_e32 v86, v153, v25
	v_mul_f32_e32 v2, v153, v24
	v_fmac_f32_e32 v86, v152, v24
	v_fma_f32 v24, v152, v25, -v2
	s_waitcnt lgkmcnt(13)
	v_mul_f32_e32 v2, v155, v36
	v_fma_f32 v87, v154, v37, -v2
	s_waitcnt lgkmcnt(12)
	v_mul_f32_e32 v2, v165, v40
	v_fma_f32 v89, v164, v41, -v2
	v_mul_f32_e32 v2, v167, v20
	v_fma_f32 v91, v166, v21, -v2
	s_waitcnt lgkmcnt(11)
	v_mul_f32_e32 v2, v161, v44
	v_fma_f32 v93, v160, v45, -v2
	v_mul_f32_e32 v2, v163, v38
	v_fma_f32 v95, v162, v39, -v2
	;; [unrolled: 2-line block ×3, first 2 shown]
	s_waitcnt lgkmcnt(9)
	v_mul_f32_e32 v2, v175, v48
	v_fma_f32 v99, v174, v49, -v2
	v_mul_f32_e32 v2, v169, v46
	v_fma_f32 v101, v168, v47, -v2
	s_waitcnt lgkmcnt(8)
	v_mul_f32_e32 v2, v171, v52
	v_fma_f32 v103, v170, v53, -v2
	s_waitcnt lgkmcnt(7)
	v_mul_f32_e32 v2, v181, v56
	v_fma_f32 v105, v180, v57, -v2
	v_mul_f32_e32 v2, v183, v50
	v_fma_f32 v107, v182, v51, -v2
	s_waitcnt lgkmcnt(6)
	v_mul_f32_e32 v2, v177, v60
	v_fma_f32 v109, v176, v61, -v2
	v_mul_f32_e32 v2, v179, v54
	v_fma_f32 v111, v178, v55, -v2
	;; [unrolled: 2-line block ×3, first 2 shown]
	s_waitcnt lgkmcnt(4)
	v_mul_f32_e32 v2, v191, v64
	v_fma_f32 v115, v190, v65, -v2
	v_mul_f32_e32 v2, v185, v62
	v_fma_f32 v117, v184, v63, -v2
	s_waitcnt lgkmcnt(3)
	v_mul_f32_e32 v2, v187, v68
	v_mul_f32_e32 v84, v159, v19
	v_fma_f32 v119, v186, v69, -v2
	s_waitcnt lgkmcnt(2)
	v_mul_f32_e32 v2, v197, v72
	v_fmac_f32_e32 v84, v158, v18
	v_fma_f32 v121, v196, v73, -v2
	v_mul_f32_e32 v2, v199, v66
	v_fma_f32 v123, v198, v67, -v2
	s_waitcnt lgkmcnt(1)
	v_mul_f32_e32 v2, v193, v76
	v_add_f32_e32 v3, v84, v86
	v_mul_f32_e32 v25, v155, v37
	v_mul_f32_e32 v90, v167, v21
	v_fma_f32 v125, v192, v77, -v2
	v_mul_f32_e32 v2, v195, v70
	v_fma_f32 v18, -0.5, v3, v8
	v_fmac_f32_e32 v25, v154, v36
	v_mul_f32_e32 v88, v165, v41
	v_fmac_f32_e32 v90, v166, v20
	v_fma_f32 v127, v194, v71, -v2
	v_mul_f32_e32 v2, v205, v74
	v_mul_f32_e32 v41, v207, v23
	v_sub_f32_e32 v3, v83, v87
	v_mov_b32_e32 v20, v18
	v_fma_f32 v36, v204, v75, -v2
	v_fmac_f32_e32 v41, v206, v22
	v_mul_f32_e32 v2, v207, v22
	v_fmac_f32_e32 v20, 0xbf737871, v3
	v_sub_f32_e32 v19, v85, v24
	v_sub_f32_e32 v21, v82, v84
	;; [unrolled: 1-line block ×3, first 2 shown]
	v_fmac_f32_e32 v18, 0x3f737871, v3
	v_mul_f32_e32 v94, v163, v39
	v_fma_f32 v37, v206, v23, -v2
	v_mul_f32_e32 v2, v201, v78
	v_fmac_f32_e32 v20, 0xbf167918, v19
	v_add_f32_e32 v21, v21, v22
	v_fmac_f32_e32 v18, 0x3f167918, v19
	v_fmac_f32_e32 v94, v162, v38
	v_fma_f32 v38, v200, v79, -v2
	s_waitcnt lgkmcnt(0)
	v_mul_f32_e32 v2, v203, v80
	v_fmac_f32_e32 v20, 0x3e9e377a, v21
	v_fmac_f32_e32 v18, 0x3e9e377a, v21
	v_add_f32_e32 v21, v82, v25
	v_fma_f32 v39, v202, v81, -v2
	v_add_f32_e32 v2, v8, v82
	v_fma_f32 v8, -0.5, v21, v8
	v_mov_b32_e32 v22, v8
	v_add_f32_e32 v2, v2, v84
	v_fmac_f32_e32 v22, 0x3f737871, v19
	v_sub_f32_e32 v21, v84, v82
	v_sub_f32_e32 v23, v86, v25
	v_fmac_f32_e32 v8, 0xbf737871, v19
	v_add_f32_e32 v19, v85, v24
	v_add_f32_e32 v2, v2, v86
	v_fmac_f32_e32 v22, 0xbf167918, v3
	v_add_f32_e32 v21, v21, v23
	v_fmac_f32_e32 v8, 0x3f167918, v3
	v_fma_f32 v19, -0.5, v19, v9
	v_mul_f32_e32 v92, v161, v45
	v_add_f32_e32 v2, v2, v25
	v_fmac_f32_e32 v22, 0x3e9e377a, v21
	v_fmac_f32_e32 v8, 0x3e9e377a, v21
	v_sub_f32_e32 v25, v82, v25
	v_mov_b32_e32 v21, v19
	v_fmac_f32_e32 v92, v160, v44
	v_fmac_f32_e32 v21, 0x3f737871, v25
	v_sub_f32_e32 v44, v84, v86
	v_sub_f32_e32 v23, v83, v85
	;; [unrolled: 1-line block ×3, first 2 shown]
	v_fmac_f32_e32 v19, 0xbf737871, v25
	v_fmac_f32_e32 v21, 0x3f167918, v44
	v_add_f32_e32 v23, v23, v45
	v_fmac_f32_e32 v19, 0xbf167918, v44
	v_fmac_f32_e32 v21, 0x3e9e377a, v23
	;; [unrolled: 1-line block ×3, first 2 shown]
	v_add_f32_e32 v23, v83, v87
	v_add_f32_e32 v3, v9, v83
	v_fma_f32 v9, -0.5, v23, v9
	v_add_f32_e32 v3, v3, v85
	v_mov_b32_e32 v23, v9
	v_add_f32_e32 v3, v3, v24
	v_fmac_f32_e32 v23, 0xbf737871, v44
	v_sub_f32_e32 v45, v85, v83
	v_sub_f32_e32 v24, v24, v87
	v_fmac_f32_e32 v9, 0x3f737871, v44
	v_fmac_f32_e32 v88, v164, v40
	v_fmac_f32_e32 v23, 0x3f167918, v25
	v_add_f32_e32 v24, v45, v24
	v_fmac_f32_e32 v9, 0xbf167918, v25
	v_fmac_f32_e32 v23, 0x3e9e377a, v24
	;; [unrolled: 1-line block ×3, first 2 shown]
	v_add_f32_e32 v24, v10, v88
	v_add_f32_e32 v24, v24, v90
	;; [unrolled: 1-line block ×5, first 2 shown]
	v_mul_f32_e32 v100, v169, v47
	v_fma_f32 v24, -0.5, v24, v10
	v_mul_f32_e32 v98, v175, v49
	v_fmac_f32_e32 v100, v168, v46
	v_sub_f32_e32 v25, v89, v95
	v_mov_b32_e32 v46, v24
	v_fmac_f32_e32 v98, v174, v48
	v_fmac_f32_e32 v46, 0xbf737871, v25
	v_sub_f32_e32 v45, v91, v93
	v_sub_f32_e32 v47, v88, v90
	;; [unrolled: 1-line block ×3, first 2 shown]
	v_fmac_f32_e32 v24, 0x3f737871, v25
	v_fmac_f32_e32 v46, 0xbf167918, v45
	v_add_f32_e32 v47, v47, v48
	v_fmac_f32_e32 v24, 0x3f167918, v45
	v_fmac_f32_e32 v46, 0x3e9e377a, v47
	;; [unrolled: 1-line block ×3, first 2 shown]
	v_add_f32_e32 v47, v88, v94
	v_fma_f32 v10, -0.5, v47, v10
	v_mov_b32_e32 v48, v10
	v_fmac_f32_e32 v48, 0x3f737871, v45
	v_fmac_f32_e32 v10, 0xbf737871, v45
	;; [unrolled: 1-line block ×4, first 2 shown]
	v_add_f32_e32 v25, v11, v89
	v_add_f32_e32 v25, v25, v91
	;; [unrolled: 1-line block ×3, first 2 shown]
	v_sub_f32_e32 v47, v90, v88
	v_sub_f32_e32 v49, v92, v94
	v_add_f32_e32 v45, v25, v95
	v_add_f32_e32 v25, v91, v93
	v_mul_f32_e32 v106, v183, v51
	v_add_f32_e32 v47, v47, v49
	v_fma_f32 v25, -0.5, v25, v11
	v_mul_f32_e32 v102, v171, v53
	v_fmac_f32_e32 v106, v182, v50
	v_fmac_f32_e32 v48, 0x3e9e377a, v47
	;; [unrolled: 1-line block ×3, first 2 shown]
	v_sub_f32_e32 v50, v88, v94
	v_mov_b32_e32 v47, v25
	v_fmac_f32_e32 v102, v170, v52
	v_fmac_f32_e32 v47, 0x3f737871, v50
	v_sub_f32_e32 v51, v90, v92
	v_sub_f32_e32 v49, v89, v91
	;; [unrolled: 1-line block ×3, first 2 shown]
	v_fmac_f32_e32 v25, 0xbf737871, v50
	v_fmac_f32_e32 v47, 0x3f167918, v51
	v_add_f32_e32 v49, v49, v52
	v_fmac_f32_e32 v25, 0xbf167918, v51
	v_fmac_f32_e32 v47, 0x3e9e377a, v49
	;; [unrolled: 1-line block ×3, first 2 shown]
	v_add_f32_e32 v49, v89, v95
	v_fmac_f32_e32 v11, -0.5, v49
	v_mov_b32_e32 v49, v11
	v_fmac_f32_e32 v49, 0xbf737871, v51
	v_sub_f32_e32 v52, v91, v89
	v_sub_f32_e32 v53, v93, v95
	v_fmac_f32_e32 v11, 0x3f737871, v51
	v_fmac_f32_e32 v49, 0x3f167918, v50
	v_add_f32_e32 v52, v52, v53
	v_fmac_f32_e32 v11, 0xbf167918, v50
	v_add_f32_e32 v51, v98, v100
	v_mul_f32_e32 v96, v173, v43
	v_mul_f32_e32 v110, v179, v55
	v_fmac_f32_e32 v49, 0x3e9e377a, v52
	v_fmac_f32_e32 v11, 0x3e9e377a, v52
	v_fma_f32 v52, -0.5, v51, v12
	v_fmac_f32_e32 v96, v172, v42
	v_mul_f32_e32 v104, v181, v57
	v_fmac_f32_e32 v110, v178, v54
	v_sub_f32_e32 v51, v97, v103
	v_mov_b32_e32 v54, v52
	v_fmac_f32_e32 v104, v180, v56
	v_fmac_f32_e32 v54, 0xbf737871, v51
	v_sub_f32_e32 v53, v99, v101
	v_sub_f32_e32 v55, v96, v98
	;; [unrolled: 1-line block ×3, first 2 shown]
	v_fmac_f32_e32 v52, 0x3f737871, v51
	v_fmac_f32_e32 v54, 0xbf167918, v53
	v_add_f32_e32 v55, v55, v56
	v_fmac_f32_e32 v52, 0x3f167918, v53
	v_fmac_f32_e32 v54, 0x3e9e377a, v55
	;; [unrolled: 1-line block ×3, first 2 shown]
	v_add_f32_e32 v55, v96, v102
	v_add_f32_e32 v50, v12, v96
	v_fma_f32 v12, -0.5, v55, v12
	v_mov_b32_e32 v56, v12
	v_fmac_f32_e32 v56, 0x3f737871, v53
	v_sub_f32_e32 v55, v98, v96
	v_sub_f32_e32 v57, v100, v102
	v_fmac_f32_e32 v12, 0xbf737871, v53
	v_add_f32_e32 v53, v99, v101
	v_mul_f32_e32 v112, v189, v59
	v_fmac_f32_e32 v56, 0xbf167918, v51
	v_add_f32_e32 v55, v55, v57
	v_fmac_f32_e32 v12, 0x3f167918, v51
	v_fma_f32 v53, -0.5, v53, v13
	v_mul_f32_e32 v108, v177, v61
	v_fmac_f32_e32 v112, v188, v58
	v_fmac_f32_e32 v56, 0x3e9e377a, v55
	;; [unrolled: 1-line block ×3, first 2 shown]
	v_sub_f32_e32 v58, v96, v102
	v_mov_b32_e32 v55, v53
	v_fmac_f32_e32 v108, v176, v60
	v_fmac_f32_e32 v55, 0x3f737871, v58
	v_sub_f32_e32 v59, v98, v100
	v_sub_f32_e32 v57, v97, v99
	;; [unrolled: 1-line block ×3, first 2 shown]
	v_fmac_f32_e32 v53, 0xbf737871, v58
	v_fmac_f32_e32 v55, 0x3f167918, v59
	v_add_f32_e32 v57, v57, v60
	v_fmac_f32_e32 v53, 0xbf167918, v59
	v_fmac_f32_e32 v55, 0x3e9e377a, v57
	;; [unrolled: 1-line block ×3, first 2 shown]
	v_add_f32_e32 v57, v97, v103
	v_add_f32_e32 v51, v13, v97
	v_fma_f32 v13, -0.5, v57, v13
	v_mov_b32_e32 v57, v13
	v_fmac_f32_e32 v57, 0xbf737871, v59
	v_sub_f32_e32 v60, v99, v97
	v_sub_f32_e32 v61, v101, v103
	v_fmac_f32_e32 v13, 0x3f737871, v59
	v_fmac_f32_e32 v57, 0x3f167918, v58
	v_add_f32_e32 v60, v60, v61
	v_fmac_f32_e32 v13, 0xbf167918, v58
	v_add_f32_e32 v59, v106, v108
	v_mul_f32_e32 v116, v185, v63
	v_fmac_f32_e32 v57, 0x3e9e377a, v60
	v_fmac_f32_e32 v13, 0x3e9e377a, v60
	v_fma_f32 v60, -0.5, v59, v14
	v_mul_f32_e32 v114, v191, v65
	v_fmac_f32_e32 v116, v184, v62
	v_sub_f32_e32 v59, v105, v111
	v_mov_b32_e32 v62, v60
	v_fmac_f32_e32 v114, v190, v64
	v_fmac_f32_e32 v62, 0xbf737871, v59
	v_sub_f32_e32 v61, v107, v109
	v_sub_f32_e32 v63, v104, v106
	v_sub_f32_e32 v64, v110, v108
	v_fmac_f32_e32 v60, 0x3f737871, v59
	v_fmac_f32_e32 v62, 0xbf167918, v61
	v_add_f32_e32 v63, v63, v64
	v_fmac_f32_e32 v60, 0x3f167918, v61
	v_fmac_f32_e32 v62, 0x3e9e377a, v63
	;; [unrolled: 1-line block ×3, first 2 shown]
	v_add_f32_e32 v63, v104, v110
	v_add_f32_e32 v58, v14, v104
	v_fma_f32 v14, -0.5, v63, v14
	v_mov_b32_e32 v64, v14
	v_fmac_f32_e32 v64, 0x3f737871, v61
	v_sub_f32_e32 v63, v106, v104
	v_sub_f32_e32 v65, v108, v110
	v_fmac_f32_e32 v14, 0xbf737871, v61
	v_add_f32_e32 v61, v107, v109
	v_mul_f32_e32 v122, v199, v67
	v_fmac_f32_e32 v64, 0xbf167918, v59
	v_add_f32_e32 v63, v63, v65
	v_fmac_f32_e32 v14, 0x3f167918, v59
	v_fma_f32 v61, -0.5, v61, v15
	v_mul_f32_e32 v118, v187, v69
	v_fmac_f32_e32 v122, v198, v66
	v_fmac_f32_e32 v64, 0x3e9e377a, v63
	;; [unrolled: 1-line block ×3, first 2 shown]
	v_sub_f32_e32 v66, v104, v110
	v_mov_b32_e32 v63, v61
	v_fmac_f32_e32 v118, v186, v68
	v_fmac_f32_e32 v63, 0x3f737871, v66
	v_sub_f32_e32 v67, v106, v108
	v_sub_f32_e32 v65, v105, v107
	;; [unrolled: 1-line block ×3, first 2 shown]
	v_fmac_f32_e32 v61, 0xbf737871, v66
	v_fmac_f32_e32 v63, 0x3f167918, v67
	v_add_f32_e32 v65, v65, v68
	v_fmac_f32_e32 v61, 0xbf167918, v67
	v_fmac_f32_e32 v63, 0x3e9e377a, v65
	;; [unrolled: 1-line block ×3, first 2 shown]
	v_add_f32_e32 v65, v105, v111
	v_add_f32_e32 v59, v15, v105
	v_fmac_f32_e32 v15, -0.5, v65
	v_mov_b32_e32 v65, v15
	v_fmac_f32_e32 v65, 0xbf737871, v67
	v_sub_f32_e32 v68, v107, v105
	v_sub_f32_e32 v69, v109, v111
	v_fmac_f32_e32 v15, 0x3f737871, v67
	v_fmac_f32_e32 v65, 0x3f167918, v66
	v_add_f32_e32 v68, v68, v69
	v_fmac_f32_e32 v15, 0xbf167918, v66
	v_add_f32_e32 v67, v114, v116
	v_mul_f32_e32 v126, v195, v71
	v_fmac_f32_e32 v65, 0x3e9e377a, v68
	v_fmac_f32_e32 v15, 0x3e9e377a, v68
	v_fma_f32 v68, -0.5, v67, v4
	v_mul_f32_e32 v120, v197, v73
	v_fmac_f32_e32 v126, v194, v70
	v_sub_f32_e32 v67, v113, v119
	v_mov_b32_e32 v70, v68
	v_fmac_f32_e32 v120, v196, v72
	v_fmac_f32_e32 v70, 0xbf737871, v67
	v_sub_f32_e32 v69, v115, v117
	v_sub_f32_e32 v71, v112, v114
	v_sub_f32_e32 v72, v118, v116
	v_fmac_f32_e32 v68, 0x3f737871, v67
	v_fmac_f32_e32 v70, 0xbf167918, v69
	v_add_f32_e32 v71, v71, v72
	v_fmac_f32_e32 v68, 0x3f167918, v69
	v_fmac_f32_e32 v70, 0x3e9e377a, v71
	;; [unrolled: 1-line block ×3, first 2 shown]
	v_add_f32_e32 v71, v112, v118
	v_add_f32_e32 v66, v4, v112
	v_fma_f32 v4, -0.5, v71, v4
	v_mov_b32_e32 v72, v4
	v_fmac_f32_e32 v72, 0x3f737871, v69
	v_sub_f32_e32 v71, v114, v112
	v_sub_f32_e32 v73, v116, v118
	v_fmac_f32_e32 v4, 0xbf737871, v69
	v_add_f32_e32 v69, v115, v117
	v_mul_f32_e32 v40, v205, v75
	v_fmac_f32_e32 v72, 0xbf167918, v67
	v_add_f32_e32 v71, v71, v73
	v_fmac_f32_e32 v4, 0x3f167918, v67
	v_fma_f32 v69, -0.5, v69, v5
	v_mul_f32_e32 v124, v193, v77
	v_fmac_f32_e32 v40, v204, v74
	v_fmac_f32_e32 v72, 0x3e9e377a, v71
	v_fmac_f32_e32 v4, 0x3e9e377a, v71
	v_sub_f32_e32 v74, v112, v118
	v_mov_b32_e32 v71, v69
	v_fmac_f32_e32 v124, v192, v76
	v_fmac_f32_e32 v71, 0x3f737871, v74
	v_sub_f32_e32 v75, v114, v116
	v_sub_f32_e32 v73, v113, v115
	;; [unrolled: 1-line block ×3, first 2 shown]
	v_fmac_f32_e32 v69, 0xbf737871, v74
	v_fmac_f32_e32 v71, 0x3f167918, v75
	v_add_f32_e32 v73, v73, v76
	v_fmac_f32_e32 v69, 0xbf167918, v75
	v_fmac_f32_e32 v71, 0x3e9e377a, v73
	v_fmac_f32_e32 v69, 0x3e9e377a, v73
	v_add_f32_e32 v73, v113, v119
	v_add_f32_e32 v67, v5, v113
	v_fma_f32 v5, -0.5, v73, v5
	v_mov_b32_e32 v73, v5
	v_fmac_f32_e32 v73, 0xbf737871, v75
	v_sub_f32_e32 v76, v115, v113
	v_sub_f32_e32 v77, v117, v119
	v_fmac_f32_e32 v5, 0x3f737871, v75
	v_fmac_f32_e32 v73, 0x3f167918, v74
	v_add_f32_e32 v76, v76, v77
	v_fmac_f32_e32 v5, 0xbf167918, v74
	v_add_f32_e32 v75, v122, v124
	v_mul_f32_e32 v42, v201, v79
	v_fmac_f32_e32 v73, 0x3e9e377a, v76
	v_fmac_f32_e32 v5, 0x3e9e377a, v76
	v_fma_f32 v76, -0.5, v75, v6
	v_fmac_f32_e32 v42, v200, v78
	v_mul_f32_e32 v43, v203, v81
	v_sub_f32_e32 v75, v121, v127
	v_mov_b32_e32 v78, v76
	v_fmac_f32_e32 v43, v202, v80
	v_fmac_f32_e32 v78, 0xbf737871, v75
	v_sub_f32_e32 v77, v123, v125
	v_sub_f32_e32 v79, v120, v122
	;; [unrolled: 1-line block ×3, first 2 shown]
	v_fmac_f32_e32 v76, 0x3f737871, v75
	v_fmac_f32_e32 v78, 0xbf167918, v77
	v_add_f32_e32 v79, v79, v80
	v_fmac_f32_e32 v76, 0x3f167918, v77
	v_fmac_f32_e32 v78, 0x3e9e377a, v79
	;; [unrolled: 1-line block ×3, first 2 shown]
	v_add_f32_e32 v79, v120, v126
	v_add_f32_e32 v74, v6, v120
	v_fma_f32 v6, -0.5, v79, v6
	v_mov_b32_e32 v80, v6
	v_fmac_f32_e32 v80, 0x3f737871, v77
	v_sub_f32_e32 v79, v122, v120
	v_sub_f32_e32 v81, v124, v126
	v_fmac_f32_e32 v6, 0xbf737871, v77
	v_add_f32_e32 v77, v123, v125
	v_fmac_f32_e32 v80, 0xbf167918, v75
	v_add_f32_e32 v79, v79, v81
	v_fmac_f32_e32 v6, 0x3f167918, v75
	v_fma_f32 v77, -0.5, v77, v7
	v_fmac_f32_e32 v80, 0x3e9e377a, v79
	v_fmac_f32_e32 v6, 0x3e9e377a, v79
	v_sub_f32_e32 v82, v120, v126
	v_mov_b32_e32 v79, v77
	v_fmac_f32_e32 v79, 0x3f737871, v82
	v_sub_f32_e32 v83, v122, v124
	v_sub_f32_e32 v81, v121, v123
	;; [unrolled: 1-line block ×3, first 2 shown]
	v_fmac_f32_e32 v77, 0xbf737871, v82
	v_fmac_f32_e32 v79, 0x3f167918, v83
	v_add_f32_e32 v81, v81, v84
	v_fmac_f32_e32 v77, 0xbf167918, v83
	v_fmac_f32_e32 v79, 0x3e9e377a, v81
	;; [unrolled: 1-line block ×3, first 2 shown]
	v_add_f32_e32 v81, v121, v127
	v_add_f32_e32 v75, v7, v121
	v_fmac_f32_e32 v7, -0.5, v81
	v_mov_b32_e32 v81, v7
	v_fmac_f32_e32 v81, 0xbf737871, v83
	v_sub_f32_e32 v84, v123, v121
	v_sub_f32_e32 v85, v125, v127
	v_fmac_f32_e32 v7, 0x3f737871, v83
	v_fmac_f32_e32 v81, 0x3f167918, v82
	v_add_f32_e32 v84, v84, v85
	v_fmac_f32_e32 v7, 0xbf167918, v82
	v_add_f32_e32 v83, v41, v42
	v_fmac_f32_e32 v81, 0x3e9e377a, v84
	v_fmac_f32_e32 v7, 0x3e9e377a, v84
	v_fma_f32 v84, -0.5, v83, v0
	v_sub_f32_e32 v83, v36, v39
	v_mov_b32_e32 v86, v84
	v_add_f32_e32 v3, v3, v87
	v_fmac_f32_e32 v86, 0xbf737871, v83
	v_sub_f32_e32 v85, v37, v38
	v_sub_f32_e32 v87, v40, v41
	;; [unrolled: 1-line block ×3, first 2 shown]
	v_fmac_f32_e32 v84, 0x3f737871, v83
	v_fmac_f32_e32 v86, 0xbf167918, v85
	v_add_f32_e32 v87, v87, v88
	v_fmac_f32_e32 v84, 0x3f167918, v85
	v_fmac_f32_e32 v86, 0x3e9e377a, v87
	;; [unrolled: 1-line block ×3, first 2 shown]
	v_add_f32_e32 v87, v40, v43
	v_add_f32_e32 v82, v0, v40
	v_fma_f32 v0, -0.5, v87, v0
	v_mov_b32_e32 v88, v0
	v_fmac_f32_e32 v88, 0x3f737871, v85
	v_sub_f32_e32 v87, v41, v40
	v_sub_f32_e32 v89, v42, v43
	v_fmac_f32_e32 v0, 0xbf737871, v85
	v_add_f32_e32 v85, v37, v38
	v_add_f32_e32 v82, v82, v41
	v_fmac_f32_e32 v88, 0xbf167918, v83
	v_add_f32_e32 v87, v87, v89
	v_fmac_f32_e32 v0, 0x3f167918, v83
	v_fma_f32 v85, -0.5, v85, v1
	v_add_f32_e32 v82, v82, v42
	v_fmac_f32_e32 v88, 0x3e9e377a, v87
	v_fmac_f32_e32 v0, 0x3e9e377a, v87
	v_sub_f32_e32 v40, v40, v43
	v_mov_b32_e32 v87, v85
	v_add_f32_e32 v82, v82, v43
	v_fmac_f32_e32 v87, 0x3f737871, v40
	v_sub_f32_e32 v41, v41, v42
	v_sub_f32_e32 v42, v36, v37
	;; [unrolled: 1-line block ×3, first 2 shown]
	v_fmac_f32_e32 v85, 0xbf737871, v40
	v_fmac_f32_e32 v87, 0x3f167918, v41
	v_add_f32_e32 v42, v42, v43
	v_fmac_f32_e32 v85, 0xbf167918, v41
	v_fmac_f32_e32 v87, 0x3e9e377a, v42
	;; [unrolled: 1-line block ×3, first 2 shown]
	v_add_f32_e32 v42, v36, v39
	v_add_f32_e32 v83, v1, v36
	v_fmac_f32_e32 v1, -0.5, v42
	v_mov_b32_e32 v89, v1
	v_add_f32_e32 v50, v50, v98
	v_add_f32_e32 v51, v51, v99
	;; [unrolled: 1-line block ×9, first 2 shown]
	v_fmac_f32_e32 v89, 0xbf737871, v41
	v_sub_f32_e32 v36, v37, v36
	v_sub_f32_e32 v37, v38, v39
	v_fmac_f32_e32 v1, 0x3f737871, v41
	v_add_f32_e32 v50, v50, v100
	v_add_f32_e32 v51, v51, v101
	;; [unrolled: 1-line block ×9, first 2 shown]
	v_fmac_f32_e32 v89, 0x3f167918, v40
	v_add_f32_e32 v36, v36, v37
	v_fmac_f32_e32 v1, 0xbf167918, v40
	v_add_f32_e32 v50, v50, v102
	v_add_f32_e32 v51, v51, v103
	;; [unrolled: 1-line block ×9, first 2 shown]
	v_fmac_f32_e32 v89, 0x3e9e377a, v36
	v_fmac_f32_e32 v1, 0x3e9e377a, v36
	ds_write_b64 v26, v[20:21] offset:3080
	ds_write_b64 v26, v[22:23] offset:6160
	;; [unrolled: 1-line block ×4, first 2 shown]
	ds_write2_b64 v26, v[2:3], v[44:45] offset1:55
	ds_write2_b64 v28, v[46:47], v[54:55] offset0:184 offset1:239
	ds_write2_b64 v34, v[48:49], v[56:57] offset0:57 offset1:112
	ds_write2_b64 v30, v[10:11], v[12:13] offset0:186 offset1:241
	ds_write2_b64 v27, v[24:25], v[52:53] offset0:59 offset1:114
	ds_write2_b64 v26, v[50:51], v[58:59] offset0:110 offset1:165
	ds_write_b64 v26, v[64:65] offset:7480
	ds_write_b64 v26, v[14:15] offset:10560
	;; [unrolled: 1-line block ×3, first 2 shown]
	ds_write2_b64 v32, v[62:63], v[70:71] offset0:38 offset1:93
	ds_write_b64 v26, v[4:5] offset:11000
	ds_write_b64 v26, v[68:69] offset:14080
	ds_write2_b64 v35, v[66:67], v[74:75] offset0:92 offset1:147
	ds_write2_b64 v29, v[72:73], v[80:81] offset0:94 offset1:149
	ds_write_b64 v26, v[6:7] offset:11440
	ds_write_b64 v26, v[76:77] offset:14520
	;; [unrolled: 1-line block ×3, first 2 shown]
	ds_write2_b64 v32, v[78:79], v[86:87] offset0:148 offset1:203
	ds_write_b64 v26, v[88:89] offset:8800
	ds_write_b64 v26, v[0:1] offset:11880
	;; [unrolled: 1-line block ×3, first 2 shown]
	s_waitcnt lgkmcnt(0)
	; wave barrier
	s_waitcnt lgkmcnt(0)
	ds_read2_b64 v[6:9], v26 offset1:55
	buffer_load_dword v4, off, s[20:23], 0 offset:260 ; 4-byte Folded Reload
	buffer_load_dword v5, off, s[20:23], 0 offset:264 ; 4-byte Folded Reload
	v_mov_b32_e32 v0, v17
	v_mad_u64_u32 v[0:1], s[0:1], s11, v208, v[0:1]
	s_mov_b32 s0, 0xebc93598
	s_mov_b32 s1, 0x3f4105b7
	v_mov_b32_e32 v17, v0
	s_waitcnt vmcnt(0) lgkmcnt(0)
	v_mul_f32_e32 v3, v5, v6
	v_mul_f32_e32 v1, v5, v7
	v_fma_f32 v3, v4, v7, -v3
	buffer_load_dword v7, off, s[20:23], 0 offset:208 ; 4-byte Folded Reload
	v_fmac_f32_e32 v1, v4, v6
	v_cvt_f64_f32_e32 v[1:2], v1
	v_cvt_f64_f32_e32 v[3:4], v3
	v_mul_f64 v[1:2], v[1:2], s[0:1]
	v_mul_f64 v[10:11], v[3:4], s[0:1]
	v_mov_b32_e32 v4, s3
	s_mul_hi_u32 s3, s8, 0x898
	v_cvt_f32_f64_e32 v12, v[1:2]
	v_cvt_f32_f64_e32 v13, v[10:11]
	v_lshlrev_b64 v[10:11], 3, v[16:17]
	v_add_co_u32_e32 v10, vcc, s2, v10
	v_addc_co_u32_e32 v11, vcc, v4, v11, vcc
	s_mul_i32 s2, s9, 0x898
	s_add_i32 s2, s3, s2
	s_mul_i32 s3, s8, 0x898
	v_mov_b32_e32 v19, s2
	v_mov_b32_e32 v20, s2
	;; [unrolled: 1-line block ×3, first 2 shown]
	s_waitcnt vmcnt(0)
	v_mad_u64_u32 v[5:6], s[4:5], s8, v7, 0
	v_mov_b32_e32 v0, v6
	v_mad_u64_u32 v[6:7], s[4:5], s9, v7, v[0:1]
	ds_read2_b64 v[0:3], v35 offset0:92 offset1:147
	buffer_load_dword v16, off, s[20:23], 0 offset:228 ; 4-byte Folded Reload
	buffer_load_dword v17, off, s[20:23], 0 offset:232 ; 4-byte Folded Reload
	v_lshlrev_b64 v[4:5], 3, v[5:6]
	s_mul_hi_u32 s5, s8, 0xffffce28
	s_mul_i32 s4, s9, 0xffffce28
	s_sub_i32 s5, s5, s8
	s_add_i32 s5, s5, s4
	s_mul_i32 s4, s8, 0xffffce28
	s_waitcnt vmcnt(0) lgkmcnt(0)
	v_mul_f32_e32 v7, v17, v3
	v_fmac_f32_e32 v7, v16, v2
	v_cvt_f64_f32_e32 v[14:15], v7
	v_mul_f32_e32 v2, v17, v2
	v_fma_f32 v2, v16, v3, -v2
	v_cvt_f64_f32_e32 v[2:3], v2
	v_mul_f64 v[6:7], v[14:15], s[0:1]
	v_add_co_u32_e32 v14, vcc, v10, v4
	v_addc_co_u32_e32 v15, vcc, v11, v5, vcc
	global_store_dwordx2 v[14:15], v[12:13], off
	ds_read2_b64 v[10:13], v32 offset0:38 offset1:93
	buffer_load_dword v4, off, s[20:23], 0 offset:212 ; 4-byte Folded Reload
	buffer_load_dword v5, off, s[20:23], 0 offset:216 ; 4-byte Folded Reload
	v_mul_f64 v[2:3], v[2:3], s[0:1]
	v_cvt_f32_f64_e32 v6, v[6:7]
	v_add_co_u32_e32 v18, vcc, s3, v14
	v_addc_co_u32_e32 v19, vcc, v15, v19, vcc
	v_cvt_f32_f64_e32 v7, v[2:3]
	global_store_dwordx2 v[18:19], v[6:7], off
	v_add_co_u32_e32 v18, vcc, s3, v18
	v_addc_co_u32_e32 v19, vcc, v19, v20, vcc
	v_add_co_u32_e32 v22, vcc, s3, v18
	v_addc_co_u32_e32 v23, vcc, v19, v23, vcc
	s_waitcnt vmcnt(1) lgkmcnt(0)
	v_mul_f32_e32 v2, v5, v11
	v_fmac_f32_e32 v2, v4, v10
	v_cvt_f64_f32_e32 v[2:3], v2
	v_mul_f64 v[16:17], v[2:3], s[0:1]
	v_mul_f32_e32 v2, v5, v10
	v_fma_f32 v2, v4, v11, -v2
	v_cvt_f64_f32_e32 v[10:11], v2
	ds_read2_b64 v[2:5], v34 offset0:2 offset1:57
	v_mul_f64 v[6:7], v[10:11], s[0:1]
	v_cvt_f32_f64_e32 v10, v[16:17]
	buffer_load_dword v16, off, s[20:23], 0 offset:192 ; 4-byte Folded Reload
	buffer_load_dword v17, off, s[20:23], 0 offset:196 ; 4-byte Folded Reload
	s_waitcnt vmcnt(0) lgkmcnt(0)
	v_mul_f32_e32 v11, v17, v5
	v_fmac_f32_e32 v11, v16, v4
	v_cvt_f64_f32_e32 v[14:15], v11
	v_cvt_f32_f64_e32 v11, v[6:7]
	v_mul_f32_e32 v4, v17, v4
	v_fma_f32 v4, v16, v5, -v4
	v_mul_f64 v[6:7], v[14:15], s[0:1]
	global_store_dwordx2 v[18:19], v[10:11], off
	ds_read2_b64 v[14:17], v30 offset0:76 offset1:131
	buffer_load_dword v24, off, s[20:23], 0 offset:176 ; 4-byte Folded Reload
	buffer_load_dword v25, off, s[20:23], 0 offset:180 ; 4-byte Folded Reload
	v_cvt_f64_f32_e32 v[4:5], v4
	v_mul_f64 v[4:5], v[4:5], s[0:1]
	v_cvt_f32_f64_e32 v20, v[6:7]
	v_cvt_f32_f64_e32 v21, v[4:5]
	global_store_dwordx2 v[22:23], v[20:21], off
	v_add_co_u32_e32 v22, vcc, s3, v22
	s_waitcnt vmcnt(1) lgkmcnt(0)
	v_mul_f32_e32 v4, v25, v14
	v_mul_f32_e32 v10, v25, v15
	v_fma_f32 v4, v24, v15, -v4
	v_fmac_f32_e32 v10, v24, v14
	v_cvt_f64_f32_e32 v[14:15], v4
	ds_read2_b64 v[4:7], v33 offset0:40 offset1:95
	buffer_load_dword v20, off, s[20:23], 0 offset:356 ; 4-byte Folded Reload
	buffer_load_dword v21, off, s[20:23], 0 offset:360 ; 4-byte Folded Reload
	v_cvt_f64_f32_e32 v[10:11], v10
	v_mul_f64 v[14:15], v[14:15], s[0:1]
	v_mov_b32_e32 v24, s2
	v_addc_co_u32_e32 v23, vcc, v23, v24, vcc
	v_mul_f64 v[10:11], v[10:11], s[0:1]
	v_cvt_f32_f64_e32 v10, v[10:11]
	s_waitcnt vmcnt(0) lgkmcnt(0)
	v_mul_f32_e32 v11, v21, v7
	v_fmac_f32_e32 v11, v20, v6
	v_cvt_f64_f32_e32 v[18:19], v11
	v_cvt_f32_f64_e32 v11, v[14:15]
	v_mul_f32_e32 v6, v21, v6
	v_fma_f32 v6, v20, v7, -v6
	v_mul_f64 v[14:15], v[18:19], s[0:1]
	global_store_dwordx2 v[22:23], v[10:11], off
	ds_read2_b64 v[18:21], v27 offset0:114 offset1:169
	buffer_load_dword v35, off, s[20:23], 0 offset:348 ; 4-byte Folded Reload
	buffer_load_dword v36, off, s[20:23], 0 offset:352 ; 4-byte Folded Reload
	v_cvt_f64_f32_e32 v[6:7], v6
	v_mul_f64 v[6:7], v[6:7], s[0:1]
	v_cvt_f32_f64_e32 v14, v[14:15]
	v_cvt_f32_f64_e32 v15, v[6:7]
	s_waitcnt vmcnt(0) lgkmcnt(0)
	v_mul_f32_e32 v10, v36, v19
	v_fmac_f32_e32 v10, v35, v18
	v_cvt_f64_f32_e32 v[10:11], v10
	v_mul_f64 v[6:7], v[10:11], s[0:1]
	v_mul_f32_e32 v10, v36, v18
	v_add_co_u32_e32 v18, vcc, s3, v22
	v_fma_f32 v10, v35, v19, -v10
	v_addc_co_u32_e32 v19, vcc, v23, v24, vcc
	global_store_dwordx2 v[18:19], v[14:15], off
	buffer_load_dword v22, off, s[20:23], 0 offset:268 ; 4-byte Folded Reload
	buffer_load_dword v23, off, s[20:23], 0 offset:272 ; 4-byte Folded Reload
	v_cvt_f64_f32_e32 v[10:11], v10
	v_cvt_f32_f64_e32 v6, v[6:7]
	v_add_co_u32_e32 v18, vcc, s3, v18
	v_mul_f64 v[10:11], v[10:11], s[0:1]
	s_waitcnt vmcnt(0)
	v_mul_f32_e32 v7, v23, v9
	v_fmac_f32_e32 v7, v22, v8
	v_cvt_f64_f32_e32 v[14:15], v7
	v_mul_f32_e32 v7, v23, v8
	v_fma_f32 v7, v22, v9, -v7
	v_cvt_f64_f32_e32 v[8:9], v7
	v_cvt_f32_f64_e32 v7, v[10:11]
	v_mov_b32_e32 v22, s2
	v_addc_co_u32_e32 v19, vcc, v19, v22, vcc
	global_store_dwordx2 v[18:19], v[6:7], off
	v_mul_f64 v[10:11], v[14:15], s[0:1]
	v_mul_f64 v[14:15], v[8:9], s[0:1]
	ds_read2_b64 v[6:9], v28 offset0:74 offset1:129
	buffer_load_dword v22, off, s[20:23], 0 offset:168 ; 4-byte Folded Reload
	buffer_load_dword v23, off, s[20:23], 0 offset:172 ; 4-byte Folded Reload
	v_add_co_u32_e32 v18, vcc, s4, v18
	v_cvt_f32_f64_e32 v10, v[10:11]
	v_cvt_f32_f64_e32 v11, v[14:15]
	s_waitcnt vmcnt(0) lgkmcnt(0)
	v_mul_f32_e32 v14, v23, v7
	v_fmac_f32_e32 v14, v22, v6
	v_mul_f32_e32 v6, v23, v6
	v_fma_f32 v6, v22, v7, -v6
	v_mov_b32_e32 v22, s5
	v_addc_co_u32_e32 v19, vcc, v19, v22, vcc
	global_store_dwordx2 v[18:19], v[10:11], off
	buffer_load_dword v22, off, s[20:23], 0 offset:316 ; 4-byte Folded Reload
	buffer_load_dword v23, off, s[20:23], 0 offset:320 ; 4-byte Folded Reload
	v_cvt_f64_f32_e32 v[14:15], v14
	v_cvt_f64_f32_e32 v[6:7], v6
	v_add_co_u32_e32 v18, vcc, s3, v18
	v_mul_f64 v[14:15], v[14:15], s[0:1]
	v_mul_f64 v[6:7], v[6:7], s[0:1]
	v_addc_co_u32_e32 v19, vcc, v19, v24, vcc
	v_cvt_f32_f64_e32 v14, v[14:15]
	v_cvt_f32_f64_e32 v15, v[6:7]
	global_store_dwordx2 v[18:19], v[14:15], off
	v_add_co_u32_e32 v18, vcc, s3, v18
	s_waitcnt vmcnt(1)
	v_mul_f32_e32 v10, v23, v12
	v_mul_f32_e32 v6, v23, v13
	v_fma_f32 v10, v22, v13, -v10
	v_fmac_f32_e32 v6, v22, v12
	v_cvt_f64_f32_e32 v[22:23], v10
	ds_read2_b64 v[10:13], v34 offset0:112 offset1:167
	buffer_load_dword v24, off, s[20:23], 0 offset:308 ; 4-byte Folded Reload
	buffer_load_dword v25, off, s[20:23], 0 offset:312 ; 4-byte Folded Reload
	v_cvt_f64_f32_e32 v[6:7], v6
	v_mul_f64 v[14:15], v[22:23], s[0:1]
	v_mul_f64 v[6:7], v[6:7], s[0:1]
	v_cvt_f32_f64_e32 v6, v[6:7]
	v_cvt_f32_f64_e32 v7, v[14:15]
	s_waitcnt vmcnt(0) lgkmcnt(0)
	v_mul_f32_e32 v22, v25, v11
	v_fmac_f32_e32 v22, v24, v10
	v_cvt_f64_f32_e32 v[22:23], v22
	v_mul_f32_e32 v10, v25, v10
	v_fma_f32 v10, v24, v11, -v10
	v_cvt_f64_f32_e32 v[10:11], v10
	v_mul_f64 v[14:15], v[22:23], s[0:1]
	v_mov_b32_e32 v22, s2
	v_addc_co_u32_e32 v19, vcc, v19, v22, vcc
	global_store_dwordx2 v[18:19], v[6:7], off
	buffer_load_dword v22, off, s[20:23], 0 offset:324 ; 4-byte Folded Reload
	buffer_load_dword v23, off, s[20:23], 0 offset:328 ; 4-byte Folded Reload
	v_mul_f64 v[10:11], v[10:11], s[0:1]
	v_mov_b32_e32 v24, s2
	v_cvt_f32_f64_e32 v6, v[14:15]
	v_add_co_u32_e32 v18, vcc, s3, v18
	v_addc_co_u32_e32 v19, vcc, v19, v24, vcc
	v_cvt_f32_f64_e32 v7, v[10:11]
	global_store_dwordx2 v[18:19], v[6:7], off
	s_waitcnt vmcnt(1)
	v_mul_f32_e32 v14, v23, v16
	v_mul_f32_e32 v10, v23, v17
	v_fma_f32 v14, v22, v17, -v14
	v_fmac_f32_e32 v10, v22, v16
	v_cvt_f64_f32_e32 v[22:23], v14
	ds_read2_b64 v[14:17], v33 offset0:150 offset1:205
	buffer_load_dword v24, off, s[20:23], 0 offset:340 ; 4-byte Folded Reload
	buffer_load_dword v25, off, s[20:23], 0 offset:344 ; 4-byte Folded Reload
	v_cvt_f64_f32_e32 v[10:11], v10
	v_mul_f64 v[6:7], v[10:11], s[0:1]
	v_mul_f64 v[10:11], v[22:23], s[0:1]
	v_cvt_f32_f64_e32 v6, v[6:7]
	v_cvt_f32_f64_e32 v7, v[10:11]
	s_waitcnt vmcnt(0) lgkmcnt(0)
	v_mul_f32_e32 v22, v25, v15
	v_fmac_f32_e32 v22, v24, v14
	v_cvt_f64_f32_e32 v[22:23], v22
	v_mul_f32_e32 v14, v25, v14
	v_fma_f32 v14, v24, v15, -v14
	v_cvt_f64_f32_e32 v[14:15], v14
	v_mul_f64 v[10:11], v[22:23], s[0:1]
	v_mov_b32_e32 v23, s2
	v_add_co_u32_e32 v22, vcc, s3, v18
	v_addc_co_u32_e32 v23, vcc, v19, v23, vcc
	global_store_dwordx2 v[22:23], v[6:7], off
	buffer_load_dword v18, off, s[20:23], 0 offset:332 ; 4-byte Folded Reload
	buffer_load_dword v19, off, s[20:23], 0 offset:336 ; 4-byte Folded Reload
	v_mul_f64 v[14:15], v[14:15], s[0:1]
	v_cvt_f32_f64_e32 v6, v[10:11]
	v_mov_b32_e32 v24, s2
	v_add_co_u32_e32 v22, vcc, s3, v22
	v_addc_co_u32_e32 v23, vcc, v23, v24, vcc
	v_cvt_f32_f64_e32 v7, v[14:15]
	global_store_dwordx2 v[22:23], v[6:7], off
	s_waitcnt vmcnt(1)
	v_mul_f32_e32 v10, v19, v21
	v_mul_f32_e32 v14, v19, v20
	v_fmac_f32_e32 v10, v18, v20
	v_fma_f32 v14, v18, v21, -v14
	ds_read2_b64 v[18:21], v26 offset0:110 offset1:165
	buffer_load_dword v24, off, s[20:23], 0 offset:136 ; 4-byte Folded Reload
	buffer_load_dword v25, off, s[20:23], 0 offset:140 ; 4-byte Folded Reload
	v_cvt_f64_f32_e32 v[10:11], v10
	v_cvt_f64_f32_e32 v[14:15], v14
	v_mul_f64 v[6:7], v[10:11], s[0:1]
	v_mul_f64 v[10:11], v[14:15], s[0:1]
	v_cvt_f32_f64_e32 v6, v[6:7]
	v_cvt_f32_f64_e32 v7, v[10:11]
	s_waitcnt vmcnt(0) lgkmcnt(0)
	v_mul_f32_e32 v14, v25, v19
	v_fmac_f32_e32 v14, v24, v18
	v_mul_f32_e32 v18, v25, v18
	v_fma_f32 v18, v24, v19, -v18
	v_cvt_f64_f32_e32 v[14:15], v14
	v_cvt_f64_f32_e32 v[18:19], v18
	v_mov_b32_e32 v24, s5
	v_mul_f64 v[10:11], v[14:15], s[0:1]
	v_mul_f64 v[14:15], v[18:19], s[0:1]
	v_mov_b32_e32 v19, s2
	v_add_co_u32_e32 v18, vcc, s3, v22
	v_addc_co_u32_e32 v19, vcc, v23, v19, vcc
	global_store_dwordx2 v[18:19], v[6:7], off
	buffer_load_dword v22, off, s[20:23], 0 offset:128 ; 4-byte Folded Reload
	buffer_load_dword v23, off, s[20:23], 0 offset:132 ; 4-byte Folded Reload
	v_cvt_f32_f64_e32 v10, v[10:11]
	v_cvt_f32_f64_e32 v11, v[14:15]
	v_add_co_u32_e32 v18, vcc, s4, v18
	v_addc_co_u32_e32 v19, vcc, v19, v24, vcc
	global_store_dwordx2 v[18:19], v[10:11], off
	v_add_co_u32_e32 v18, vcc, s3, v18
	s_waitcnt vmcnt(1)
	v_mul_f32_e32 v6, v23, v9
	v_fmac_f32_e32 v6, v22, v8
	v_cvt_f64_f32_e32 v[14:15], v6
	v_mul_f32_e32 v6, v23, v8
	v_fma_f32 v6, v22, v9, -v6
	v_cvt_f64_f32_e32 v[22:23], v6
	ds_read2_b64 v[6:9], v32 offset0:148 offset1:203
	buffer_load_dword v24, off, s[20:23], 0 offset:244 ; 4-byte Folded Reload
	buffer_load_dword v25, off, s[20:23], 0 offset:248 ; 4-byte Folded Reload
	v_mul_f64 v[10:11], v[14:15], s[0:1]
	v_mul_f64 v[14:15], v[22:23], s[0:1]
	v_cvt_f32_f64_e32 v10, v[10:11]
	v_cvt_f32_f64_e32 v11, v[14:15]
	s_waitcnt vmcnt(0) lgkmcnt(0)
	v_mul_f32_e32 v22, v25, v7
	v_fmac_f32_e32 v22, v24, v6
	v_cvt_f64_f32_e32 v[22:23], v22
	v_mul_f32_e32 v6, v25, v6
	v_fma_f32 v6, v24, v7, -v6
	v_cvt_f64_f32_e32 v[6:7], v6
	v_mul_f64 v[14:15], v[22:23], s[0:1]
	v_mov_b32_e32 v22, s2
	v_addc_co_u32_e32 v19, vcc, v19, v22, vcc
	global_store_dwordx2 v[18:19], v[10:11], off
	buffer_load_dword v22, off, s[20:23], 0 offset:220 ; 4-byte Folded Reload
	buffer_load_dword v23, off, s[20:23], 0 offset:224 ; 4-byte Folded Reload
	v_mul_f64 v[6:7], v[6:7], s[0:1]
	v_mov_b32_e32 v24, s2
	v_cvt_f32_f64_e32 v14, v[14:15]
	v_add_co_u32_e32 v18, vcc, s3, v18
	v_addc_co_u32_e32 v19, vcc, v19, v24, vcc
	v_cvt_f32_f64_e32 v15, v[6:7]
	global_store_dwordx2 v[18:19], v[14:15], off
	v_add_co_u32_e32 v18, vcc, s3, v18
	s_waitcnt vmcnt(1)
	v_mul_f32_e32 v10, v23, v12
	v_mul_f32_e32 v6, v23, v13
	v_fma_f32 v10, v22, v13, -v10
	v_fmac_f32_e32 v6, v22, v12
	v_cvt_f64_f32_e32 v[22:23], v10
	ds_read2_b64 v[10:13], v30 offset0:186 offset1:241
	buffer_load_dword v24, off, s[20:23], 0 offset:252 ; 4-byte Folded Reload
	buffer_load_dword v25, off, s[20:23], 0 offset:256 ; 4-byte Folded Reload
	v_cvt_f64_f32_e32 v[6:7], v6
	v_mul_f64 v[14:15], v[22:23], s[0:1]
	v_mul_f64 v[6:7], v[6:7], s[0:1]
	v_cvt_f32_f64_e32 v6, v[6:7]
	v_cvt_f32_f64_e32 v7, v[14:15]
	s_waitcnt vmcnt(0) lgkmcnt(0)
	v_mul_f32_e32 v22, v25, v11
	v_fmac_f32_e32 v22, v24, v10
	v_cvt_f64_f32_e32 v[22:23], v22
	v_mul_f32_e32 v10, v25, v10
	v_fma_f32 v10, v24, v11, -v10
	v_cvt_f64_f32_e32 v[10:11], v10
	v_mul_f64 v[14:15], v[22:23], s[0:1]
	v_mov_b32_e32 v22, s2
	v_addc_co_u32_e32 v19, vcc, v19, v22, vcc
	global_store_dwordx2 v[18:19], v[6:7], off
	buffer_load_dword v22, off, s[20:23], 0 offset:284 ; 4-byte Folded Reload
	buffer_load_dword v23, off, s[20:23], 0 offset:288 ; 4-byte Folded Reload
	v_mul_f64 v[10:11], v[10:11], s[0:1]
	v_mov_b32_e32 v24, s2
	v_cvt_f32_f64_e32 v6, v[14:15]
	v_add_co_u32_e32 v18, vcc, s3, v18
	v_addc_co_u32_e32 v19, vcc, v19, v24, vcc
	v_cvt_f32_f64_e32 v7, v[10:11]
	global_store_dwordx2 v[18:19], v[6:7], off
	s_waitcnt vmcnt(1)
	v_mul_f32_e32 v14, v23, v16
	v_mul_f32_e32 v10, v23, v17
	v_fma_f32 v14, v22, v17, -v14
	v_fmac_f32_e32 v10, v22, v16
	v_cvt_f64_f32_e32 v[22:23], v14
	ds_read2_b64 v[14:17], v31 offset0:96 offset1:151
	buffer_load_dword v24, off, s[20:23], 0 offset:300 ; 4-byte Folded Reload
	buffer_load_dword v25, off, s[20:23], 0 offset:304 ; 4-byte Folded Reload
	v_cvt_f64_f32_e32 v[10:11], v10
	v_mul_f64 v[6:7], v[10:11], s[0:1]
	v_mul_f64 v[10:11], v[22:23], s[0:1]
	v_cvt_f32_f64_e32 v6, v[6:7]
	v_cvt_f32_f64_e32 v7, v[10:11]
	s_waitcnt vmcnt(0) lgkmcnt(0)
	v_mul_f32_e32 v22, v25, v15
	v_fmac_f32_e32 v22, v24, v14
	v_cvt_f64_f32_e32 v[22:23], v22
	v_mul_f32_e32 v14, v25, v14
	v_fma_f32 v14, v24, v15, -v14
	v_cvt_f64_f32_e32 v[14:15], v14
	v_mul_f64 v[10:11], v[22:23], s[0:1]
	v_mov_b32_e32 v23, s2
	v_add_co_u32_e32 v22, vcc, s3, v18
	v_addc_co_u32_e32 v23, vcc, v19, v23, vcc
	global_store_dwordx2 v[22:23], v[6:7], off
	buffer_load_dword v18, off, s[20:23], 0 offset:112 ; 4-byte Folded Reload
	buffer_load_dword v19, off, s[20:23], 0 offset:116 ; 4-byte Folded Reload
	v_mul_f64 v[14:15], v[14:15], s[0:1]
	v_cvt_f32_f64_e32 v6, v[10:11]
	v_mov_b32_e32 v24, s2
	v_add_co_u32_e32 v22, vcc, s3, v22
	v_addc_co_u32_e32 v23, vcc, v23, v24, vcc
	v_cvt_f32_f64_e32 v7, v[14:15]
	global_store_dwordx2 v[22:23], v[6:7], off
	s_waitcnt vmcnt(1)
	v_mul_f32_e32 v10, v19, v21
	v_mul_f32_e32 v14, v19, v20
	v_fmac_f32_e32 v10, v18, v20
	v_fma_f32 v14, v18, v21, -v14
	ds_read2_b64 v[18:21], v28 offset0:184 offset1:239
	buffer_load_dword v24, off, s[20:23], 0 offset:292 ; 4-byte Folded Reload
	buffer_load_dword v25, off, s[20:23], 0 offset:296 ; 4-byte Folded Reload
	v_cvt_f64_f32_e32 v[10:11], v10
	v_cvt_f64_f32_e32 v[14:15], v14
	v_mul_f64 v[6:7], v[10:11], s[0:1]
	v_mul_f64 v[10:11], v[14:15], s[0:1]
	v_cvt_f32_f64_e32 v6, v[6:7]
	v_cvt_f32_f64_e32 v7, v[10:11]
	s_waitcnt vmcnt(0) lgkmcnt(0)
	v_mul_f32_e32 v14, v25, v19
	v_fmac_f32_e32 v14, v24, v18
	v_mul_f32_e32 v18, v25, v18
	v_fma_f32 v18, v24, v19, -v18
	v_cvt_f64_f32_e32 v[14:15], v14
	v_cvt_f64_f32_e32 v[18:19], v18
	v_mov_b32_e32 v24, s2
	v_mul_f64 v[10:11], v[14:15], s[0:1]
	v_mul_f64 v[14:15], v[18:19], s[0:1]
	v_mov_b32_e32 v19, s5
	v_add_co_u32_e32 v18, vcc, s4, v22
	v_addc_co_u32_e32 v19, vcc, v23, v19, vcc
	global_store_dwordx2 v[18:19], v[6:7], off
	buffer_load_dword v22, off, s[20:23], 0 offset:120 ; 4-byte Folded Reload
	buffer_load_dword v23, off, s[20:23], 0 offset:124 ; 4-byte Folded Reload
	v_cvt_f32_f64_e32 v10, v[10:11]
	v_cvt_f32_f64_e32 v11, v[14:15]
	v_add_co_u32_e32 v18, vcc, s3, v18
	v_addc_co_u32_e32 v19, vcc, v19, v24, vcc
	global_store_dwordx2 v[18:19], v[10:11], off
	v_add_co_u32_e32 v18, vcc, s3, v18
	s_waitcnt vmcnt(1)
	v_mul_f32_e32 v6, v23, v9
	v_fmac_f32_e32 v6, v22, v8
	v_cvt_f64_f32_e32 v[14:15], v6
	v_mul_f32_e32 v6, v23, v8
	v_fma_f32 v6, v22, v9, -v6
	v_cvt_f64_f32_e32 v[22:23], v6
	ds_read2_b64 v[6:9], v29 offset0:94 offset1:149
	buffer_load_dword v24, off, s[20:23], 0 offset:276 ; 4-byte Folded Reload
	buffer_load_dword v25, off, s[20:23], 0 offset:280 ; 4-byte Folded Reload
	v_mul_f64 v[10:11], v[14:15], s[0:1]
	v_mul_f64 v[14:15], v[22:23], s[0:1]
	v_cvt_f32_f64_e32 v10, v[10:11]
	v_cvt_f32_f64_e32 v11, v[14:15]
	s_waitcnt vmcnt(0) lgkmcnt(0)
	v_mul_f32_e32 v22, v25, v7
	v_fmac_f32_e32 v22, v24, v6
	v_cvt_f64_f32_e32 v[22:23], v22
	v_mul_f32_e32 v6, v25, v6
	v_fma_f32 v6, v24, v7, -v6
	v_cvt_f64_f32_e32 v[6:7], v6
	v_mul_f64 v[14:15], v[22:23], s[0:1]
	v_mov_b32_e32 v22, s2
	v_addc_co_u32_e32 v19, vcc, v19, v22, vcc
	global_store_dwordx2 v[18:19], v[10:11], off
	buffer_load_dword v22, off, s[20:23], 0 offset:160 ; 4-byte Folded Reload
	buffer_load_dword v23, off, s[20:23], 0 offset:164 ; 4-byte Folded Reload
	v_mul_f64 v[6:7], v[6:7], s[0:1]
	v_mov_b32_e32 v24, s2
	v_cvt_f32_f64_e32 v14, v[14:15]
	v_add_co_u32_e32 v18, vcc, s3, v18
	v_addc_co_u32_e32 v19, vcc, v19, v24, vcc
	v_cvt_f32_f64_e32 v15, v[6:7]
	global_store_dwordx2 v[18:19], v[14:15], off
	v_add_co_u32_e32 v18, vcc, s3, v18
	s_waitcnt vmcnt(1)
	v_mul_f32_e32 v10, v23, v12
	v_mul_f32_e32 v6, v23, v13
	v_fma_f32 v10, v22, v13, -v10
	v_fmac_f32_e32 v6, v22, v12
	v_cvt_f64_f32_e32 v[22:23], v10
	ds_read2_b64 v[10:13], v27 offset0:4 offset1:59
	buffer_load_dword v24, off, s[20:23], 0 offset:152 ; 4-byte Folded Reload
	buffer_load_dword v25, off, s[20:23], 0 offset:156 ; 4-byte Folded Reload
	v_cvt_f64_f32_e32 v[6:7], v6
	v_mul_f64 v[14:15], v[22:23], s[0:1]
	v_mul_f64 v[6:7], v[6:7], s[0:1]
	v_cvt_f32_f64_e32 v6, v[6:7]
	v_cvt_f32_f64_e32 v7, v[14:15]
	s_waitcnt vmcnt(0) lgkmcnt(0)
	v_mul_f32_e32 v22, v25, v11
	v_fmac_f32_e32 v22, v24, v10
	v_cvt_f64_f32_e32 v[22:23], v22
	v_mul_f32_e32 v10, v25, v10
	v_fma_f32 v10, v24, v11, -v10
	v_cvt_f64_f32_e32 v[10:11], v10
	v_mul_f64 v[14:15], v[22:23], s[0:1]
	v_mov_b32_e32 v22, s2
	v_addc_co_u32_e32 v19, vcc, v19, v22, vcc
	global_store_dwordx2 v[18:19], v[6:7], off
	buffer_load_dword v23, off, s[20:23], 0 offset:236 ; 4-byte Folded Reload
	buffer_load_dword v24, off, s[20:23], 0 offset:240 ; 4-byte Folded Reload
	v_mul_f64 v[10:11], v[10:11], s[0:1]
	v_cvt_f32_f64_e32 v6, v[14:15]
	v_cvt_f32_f64_e32 v7, v[10:11]
	s_waitcnt vmcnt(0)
	v_mul_f32_e32 v10, v24, v17
	v_fmac_f32_e32 v10, v23, v16
	v_mul_f32_e32 v14, v24, v16
	v_add_co_u32_e32 v16, vcc, s3, v18
	v_fma_f32 v14, v23, v17, -v14
	v_addc_co_u32_e32 v17, vcc, v19, v22, vcc
	global_store_dwordx2 v[16:17], v[6:7], off
	buffer_load_dword v18, off, s[20:23], 0 offset:88 ; 4-byte Folded Reload
	buffer_load_dword v19, off, s[20:23], 0 offset:92 ; 4-byte Folded Reload
	v_cvt_f64_f32_e32 v[10:11], v10
	v_cvt_f64_f32_e32 v[14:15], v14
	v_mul_f64 v[6:7], v[10:11], s[0:1]
	v_mul_f64 v[10:11], v[14:15], s[0:1]
	v_cvt_f32_f64_e32 v6, v[6:7]
	v_cvt_f32_f64_e32 v7, v[10:11]
	s_waitcnt vmcnt(0)
	v_mul_f32_e32 v14, v19, v1
	v_fmac_f32_e32 v14, v18, v0
	v_cvt_f64_f32_e32 v[14:15], v14
	v_mul_f32_e32 v0, v19, v0
	v_fma_f32 v0, v18, v1, -v0
	v_cvt_f64_f32_e32 v[0:1], v0
	v_mul_f64 v[10:11], v[14:15], s[0:1]
	v_mov_b32_e32 v15, s2
	v_add_co_u32_e32 v14, vcc, s3, v16
	v_addc_co_u32_e32 v15, vcc, v17, v15, vcc
	global_store_dwordx2 v[14:15], v[6:7], off
	buffer_load_dword v17, off, s[20:23], 0 offset:184 ; 4-byte Folded Reload
	buffer_load_dword v18, off, s[20:23], 0 offset:188 ; 4-byte Folded Reload
	v_mul_f64 v[0:1], v[0:1], s[0:1]
	v_cvt_f32_f64_e32 v6, v[10:11]
	v_mov_b32_e32 v16, s5
	v_add_co_u32_e32 v14, vcc, s4, v14
	v_addc_co_u32_e32 v15, vcc, v15, v16, vcc
	v_cvt_f32_f64_e32 v7, v[0:1]
	global_store_dwordx2 v[14:15], v[6:7], off
	s_waitcnt vmcnt(1)
	v_mul_f32_e32 v0, v18, v21
	v_mul_f32_e32 v10, v18, v20
	v_fmac_f32_e32 v0, v17, v20
	v_fma_f32 v10, v17, v21, -v10
	buffer_load_dword v16, off, s[20:23], 0 offset:72 ; 4-byte Folded Reload
	buffer_load_dword v17, off, s[20:23], 0 offset:76 ; 4-byte Folded Reload
	v_cvt_f64_f32_e32 v[0:1], v0
	v_cvt_f64_f32_e32 v[10:11], v10
	v_mul_f64 v[0:1], v[0:1], s[0:1]
	v_mul_f64 v[6:7], v[10:11], s[0:1]
	v_cvt_f32_f64_e32 v0, v[0:1]
	v_cvt_f32_f64_e32 v1, v[6:7]
	s_waitcnt vmcnt(0)
	v_mul_f32_e32 v10, v17, v3
	v_fmac_f32_e32 v10, v16, v2
	v_cvt_f64_f32_e32 v[10:11], v10
	v_mul_f32_e32 v2, v17, v2
	v_fma_f32 v2, v16, v3, -v2
	v_cvt_f64_f32_e32 v[2:3], v2
	v_mul_f64 v[6:7], v[10:11], s[0:1]
	v_mov_b32_e32 v11, s2
	v_add_co_u32_e32 v10, vcc, s3, v14
	v_addc_co_u32_e32 v11, vcc, v15, v11, vcc
	global_store_dwordx2 v[10:11], v[0:1], off
	buffer_load_dword v15, off, s[20:23], 0 offset:80 ; 4-byte Folded Reload
	buffer_load_dword v16, off, s[20:23], 0 offset:84 ; 4-byte Folded Reload
	v_mul_f64 v[2:3], v[2:3], s[0:1]
	v_cvt_f32_f64_e32 v0, v[6:7]
	v_mov_b32_e32 v14, s2
	v_cvt_f32_f64_e32 v1, v[2:3]
	s_waitcnt vmcnt(0)
	v_mul_f32_e32 v2, v16, v9
	v_fmac_f32_e32 v2, v15, v8
	v_mul_f32_e32 v6, v16, v8
	v_add_co_u32_e32 v8, vcc, s3, v10
	v_fma_f32 v6, v15, v9, -v6
	v_addc_co_u32_e32 v9, vcc, v11, v14, vcc
	global_store_dwordx2 v[8:9], v[0:1], off
	buffer_load_dword v10, off, s[20:23], 0 offset:104 ; 4-byte Folded Reload
	buffer_load_dword v11, off, s[20:23], 0 offset:108 ; 4-byte Folded Reload
	v_cvt_f64_f32_e32 v[2:3], v2
	v_cvt_f64_f32_e32 v[6:7], v6
	v_mul_f64 v[0:1], v[2:3], s[0:1]
	v_mul_f64 v[2:3], v[6:7], s[0:1]
	v_cvt_f32_f64_e32 v0, v[0:1]
	v_cvt_f32_f64_e32 v1, v[2:3]
	s_waitcnt vmcnt(0)
	v_mul_f32_e32 v6, v11, v5
	v_fmac_f32_e32 v6, v10, v4
	v_cvt_f64_f32_e32 v[6:7], v6
	v_mul_f32_e32 v4, v11, v4
	v_fma_f32 v4, v10, v5, -v4
	v_cvt_f64_f32_e32 v[4:5], v4
	v_mul_f64 v[2:3], v[6:7], s[0:1]
	v_mov_b32_e32 v7, s2
	v_add_co_u32_e32 v6, vcc, s3, v8
	v_addc_co_u32_e32 v7, vcc, v9, v7, vcc
	global_store_dwordx2 v[6:7], v[0:1], off
	buffer_load_dword v8, off, s[20:23], 0 offset:96 ; 4-byte Folded Reload
	buffer_load_dword v9, off, s[20:23], 0 offset:100 ; 4-byte Folded Reload
	v_mul_f64 v[4:5], v[4:5], s[0:1]
	v_cvt_f32_f64_e32 v0, v[2:3]
	v_mov_b32_e32 v10, s2
	v_add_co_u32_e32 v6, vcc, s3, v6
	v_addc_co_u32_e32 v7, vcc, v7, v10, vcc
	v_cvt_f32_f64_e32 v1, v[4:5]
	global_store_dwordx2 v[6:7], v[0:1], off
	v_add_co_u32_e32 v6, vcc, s3, v6
	s_waitcnt vmcnt(1)
	v_mul_f32_e32 v2, v9, v13
	v_mul_f32_e32 v4, v9, v12
	v_fmac_f32_e32 v2, v8, v12
	v_fma_f32 v4, v8, v13, -v4
	ds_read_b64 v[8:9], v26 offset:14960
	buffer_load_dword v10, off, s[20:23], 0 offset:144 ; 4-byte Folded Reload
	buffer_load_dword v11, off, s[20:23], 0 offset:148 ; 4-byte Folded Reload
	v_cvt_f64_f32_e32 v[2:3], v2
	v_cvt_f64_f32_e32 v[4:5], v4
	v_mul_f64 v[0:1], v[2:3], s[0:1]
	v_mul_f64 v[2:3], v[4:5], s[0:1]
	v_cvt_f32_f64_e32 v0, v[0:1]
	v_cvt_f32_f64_e32 v1, v[2:3]
	s_waitcnt vmcnt(0) lgkmcnt(0)
	v_mul_f32_e32 v4, v11, v9
	v_fmac_f32_e32 v4, v10, v8
	v_mul_f32_e32 v8, v11, v8
	v_fma_f32 v8, v10, v9, -v8
	v_cvt_f64_f32_e32 v[4:5], v4
	v_cvt_f64_f32_e32 v[8:9], v8
	v_mul_f64 v[2:3], v[4:5], s[0:1]
	v_mul_f64 v[4:5], v[8:9], s[0:1]
	v_mov_b32_e32 v8, s2
	v_addc_co_u32_e32 v7, vcc, v7, v8, vcc
	global_store_dwordx2 v[6:7], v[0:1], off
	v_cvt_f32_f64_e32 v0, v[2:3]
	v_cvt_f32_f64_e32 v1, v[4:5]
	v_mov_b32_e32 v3, s2
	v_add_co_u32_e32 v2, vcc, s3, v6
	v_addc_co_u32_e32 v3, vcc, v7, v3, vcc
	global_store_dwordx2 v[2:3], v[0:1], off
.LBB0_10:
	s_endpgm
	.section	.rodata,"a",@progbits
	.p2align	6, 0x0
	.amdhsa_kernel bluestein_single_back_len1925_dim1_sp_op_CI_CI
		.amdhsa_group_segment_fixed_size 15400
		.amdhsa_private_segment_fixed_size 560
		.amdhsa_kernarg_size 104
		.amdhsa_user_sgpr_count 6
		.amdhsa_user_sgpr_private_segment_buffer 1
		.amdhsa_user_sgpr_dispatch_ptr 0
		.amdhsa_user_sgpr_queue_ptr 0
		.amdhsa_user_sgpr_kernarg_segment_ptr 1
		.amdhsa_user_sgpr_dispatch_id 0
		.amdhsa_user_sgpr_flat_scratch_init 0
		.amdhsa_user_sgpr_private_segment_size 0
		.amdhsa_uses_dynamic_stack 0
		.amdhsa_system_sgpr_private_segment_wavefront_offset 1
		.amdhsa_system_sgpr_workgroup_id_x 1
		.amdhsa_system_sgpr_workgroup_id_y 0
		.amdhsa_system_sgpr_workgroup_id_z 0
		.amdhsa_system_sgpr_workgroup_info 0
		.amdhsa_system_vgpr_workitem_id 0
		.amdhsa_next_free_vgpr 256
		.amdhsa_next_free_sgpr 24
		.amdhsa_reserve_vcc 1
		.amdhsa_reserve_flat_scratch 0
		.amdhsa_float_round_mode_32 0
		.amdhsa_float_round_mode_16_64 0
		.amdhsa_float_denorm_mode_32 3
		.amdhsa_float_denorm_mode_16_64 3
		.amdhsa_dx10_clamp 1
		.amdhsa_ieee_mode 1
		.amdhsa_fp16_overflow 0
		.amdhsa_exception_fp_ieee_invalid_op 0
		.amdhsa_exception_fp_denorm_src 0
		.amdhsa_exception_fp_ieee_div_zero 0
		.amdhsa_exception_fp_ieee_overflow 0
		.amdhsa_exception_fp_ieee_underflow 0
		.amdhsa_exception_fp_ieee_inexact 0
		.amdhsa_exception_int_div_zero 0
	.end_amdhsa_kernel
	.text
.Lfunc_end0:
	.size	bluestein_single_back_len1925_dim1_sp_op_CI_CI, .Lfunc_end0-bluestein_single_back_len1925_dim1_sp_op_CI_CI
                                        ; -- End function
	.section	.AMDGPU.csdata,"",@progbits
; Kernel info:
; codeLenInByte = 48028
; NumSgprs: 28
; NumVgprs: 256
; ScratchSize: 560
; MemoryBound: 0
; FloatMode: 240
; IeeeMode: 1
; LDSByteSize: 15400 bytes/workgroup (compile time only)
; SGPRBlocks: 3
; VGPRBlocks: 63
; NumSGPRsForWavesPerEU: 28
; NumVGPRsForWavesPerEU: 256
; Occupancy: 1
; WaveLimiterHint : 1
; COMPUTE_PGM_RSRC2:SCRATCH_EN: 1
; COMPUTE_PGM_RSRC2:USER_SGPR: 6
; COMPUTE_PGM_RSRC2:TRAP_HANDLER: 0
; COMPUTE_PGM_RSRC2:TGID_X_EN: 1
; COMPUTE_PGM_RSRC2:TGID_Y_EN: 0
; COMPUTE_PGM_RSRC2:TGID_Z_EN: 0
; COMPUTE_PGM_RSRC2:TIDIG_COMP_CNT: 0
	.type	__hip_cuid_3e788844bfd194de,@object ; @__hip_cuid_3e788844bfd194de
	.section	.bss,"aw",@nobits
	.globl	__hip_cuid_3e788844bfd194de
__hip_cuid_3e788844bfd194de:
	.byte	0                               ; 0x0
	.size	__hip_cuid_3e788844bfd194de, 1

	.ident	"AMD clang version 19.0.0git (https://github.com/RadeonOpenCompute/llvm-project roc-6.4.0 25133 c7fe45cf4b819c5991fe208aaa96edf142730f1d)"
	.section	".note.GNU-stack","",@progbits
	.addrsig
	.addrsig_sym __hip_cuid_3e788844bfd194de
	.amdgpu_metadata
---
amdhsa.kernels:
  - .args:
      - .actual_access:  read_only
        .address_space:  global
        .offset:         0
        .size:           8
        .value_kind:     global_buffer
      - .actual_access:  read_only
        .address_space:  global
        .offset:         8
        .size:           8
        .value_kind:     global_buffer
      - .actual_access:  read_only
        .address_space:  global
        .offset:         16
        .size:           8
        .value_kind:     global_buffer
      - .actual_access:  read_only
        .address_space:  global
        .offset:         24
        .size:           8
        .value_kind:     global_buffer
      - .actual_access:  read_only
        .address_space:  global
        .offset:         32
        .size:           8
        .value_kind:     global_buffer
      - .offset:         40
        .size:           8
        .value_kind:     by_value
      - .address_space:  global
        .offset:         48
        .size:           8
        .value_kind:     global_buffer
      - .address_space:  global
        .offset:         56
        .size:           8
        .value_kind:     global_buffer
      - .address_space:  global
        .offset:         64
        .size:           8
        .value_kind:     global_buffer
      - .address_space:  global
        .offset:         72
        .size:           8
        .value_kind:     global_buffer
      - .offset:         80
        .size:           4
        .value_kind:     by_value
      - .address_space:  global
        .offset:         88
        .size:           8
        .value_kind:     global_buffer
      - .address_space:  global
        .offset:         96
        .size:           8
        .value_kind:     global_buffer
    .group_segment_fixed_size: 15400
    .kernarg_segment_align: 8
    .kernarg_segment_size: 104
    .language:       OpenCL C
    .language_version:
      - 2
      - 0
    .max_flat_workgroup_size: 55
    .name:           bluestein_single_back_len1925_dim1_sp_op_CI_CI
    .private_segment_fixed_size: 560
    .sgpr_count:     28
    .sgpr_spill_count: 0
    .symbol:         bluestein_single_back_len1925_dim1_sp_op_CI_CI.kd
    .uniform_work_group_size: 1
    .uses_dynamic_stack: false
    .vgpr_count:     256
    .vgpr_spill_count: 157
    .wavefront_size: 64
amdhsa.target:   amdgcn-amd-amdhsa--gfx906
amdhsa.version:
  - 1
  - 2
...

	.end_amdgpu_metadata
